;; amdgpu-corpus repo=ROCm/rocFFT kind=compiled arch=gfx1030 opt=O3
	.text
	.amdgcn_target "amdgcn-amd-amdhsa--gfx1030"
	.amdhsa_code_object_version 6
	.protected	fft_rtc_fwd_len169_factors_13_13_wgs_156_tpt_13_dp_op_CI_CI_sbcc_twdbase6_3step ; -- Begin function fft_rtc_fwd_len169_factors_13_13_wgs_156_tpt_13_dp_op_CI_CI_sbcc_twdbase6_3step
	.globl	fft_rtc_fwd_len169_factors_13_13_wgs_156_tpt_13_dp_op_CI_CI_sbcc_twdbase6_3step
	.p2align	8
	.type	fft_rtc_fwd_len169_factors_13_13_wgs_156_tpt_13_dp_op_CI_CI_sbcc_twdbase6_3step,@function
fft_rtc_fwd_len169_factors_13_13_wgs_156_tpt_13_dp_op_CI_CI_sbcc_twdbase6_3step: ; @fft_rtc_fwd_len169_factors_13_13_wgs_156_tpt_13_dp_op_CI_CI_sbcc_twdbase6_3step
; %bb.0:
	s_clause 0x3
	s_load_dwordx2 s[24:25], s[4:5], 0x0
	s_load_dwordx8 s[8:15], s[4:5], 0x8
	s_load_dwordx4 s[16:19], s[4:5], 0x60
	s_load_dwordx2 s[26:27], s[4:5], 0x28
	s_mov_b32 s1, exec_lo
	v_cmpx_gt_u32_e32 0xc0, v0
	s_cbranch_execz .LBB0_3
; %bb.1:
	v_lshlrev_b32_e32 v5, 4, v0
	v_add_co_u32 v1, s0, 0xffffff64, v0
	v_add_co_ci_u32_e64 v2, null, 0, -1, s0
	s_waitcnt lgkmcnt(0)
	v_add_co_u32 v3, s0, s8, v5
	v_add_co_ci_u32_e64 v4, null, s9, 0, s0
	v_add3_u32 v5, v5, 0, 0x7ec0
	s_mov_b32 s2, 0
	.p2align	6
.LBB0_2:                                ; =>This Inner Loop Header: Depth=1
	global_load_dwordx4 v[6:9], v[3:4], off
	v_add_co_u32 v1, vcc_lo, 0x9c, v1
	v_add_co_ci_u32_e32 v2, vcc_lo, 0, v2, vcc_lo
	v_add_co_u32 v3, vcc_lo, 0x9c0, v3
	v_add_co_ci_u32_e32 v4, vcc_lo, 0, v4, vcc_lo
	v_cmp_lt_u64_e64 s0, 35, v[1:2]
	s_or_b32 s2, s0, s2
	s_waitcnt vmcnt(0)
	ds_write2_b64 v5, v[6:7], v[8:9] offset1:1
	v_add_nc_u32_e32 v5, 0x9c0, v5
	s_andn2_b32 exec_lo, exec_lo, s2
	s_cbranch_execnz .LBB0_2
.LBB0_3:
	s_or_b32 exec_lo, exec_lo, s1
	s_waitcnt lgkmcnt(0)
	s_load_dwordx2 s[28:29], s[12:13], 0x8
	s_waitcnt lgkmcnt(0)
	s_add_u32 s0, s28, -1
	s_addc_u32 s1, s29, -1
	s_add_u32 s2, 0, 0x55540000
	s_addc_u32 s3, 0, 0x55
	s_mul_hi_u32 s5, s2, -12
	s_add_i32 s3, s3, 0x15555500
	s_sub_i32 s5, s5, s2
	s_mul_i32 s8, s3, -12
	s_mul_i32 s4, s2, -12
	s_add_i32 s5, s5, s8
	s_mul_hi_u32 s7, s2, s4
	s_mul_i32 s20, s2, s5
	s_mul_hi_u32 s8, s2, s5
	s_mul_hi_u32 s9, s3, s4
	s_mul_i32 s4, s3, s4
	s_add_u32 s7, s7, s20
	s_addc_u32 s8, 0, s8
	s_mul_hi_u32 s21, s3, s5
	s_add_u32 s4, s7, s4
	s_mul_i32 s5, s3, s5
	s_addc_u32 s4, s8, s9
	s_addc_u32 s7, s21, 0
	s_add_u32 s4, s4, s5
	v_add_co_u32 v1, s2, s2, s4
	s_addc_u32 s4, 0, s7
	s_cmp_lg_u32 s2, 0
	s_addc_u32 s2, s3, s4
	v_readfirstlane_b32 s3, v1
	s_mul_i32 s5, s0, s2
	s_mul_hi_u32 s4, s0, s2
	s_mul_hi_u32 s7, s1, s2
	s_mul_i32 s2, s1, s2
	s_mul_hi_u32 s8, s0, s3
	s_mul_hi_u32 s9, s1, s3
	s_mul_i32 s3, s1, s3
	s_add_u32 s5, s8, s5
	s_addc_u32 s4, 0, s4
	s_add_u32 s3, s5, s3
	s_addc_u32 s3, s4, s9
	s_addc_u32 s4, s7, 0
	s_add_u32 s2, s3, s2
	s_addc_u32 s3, 0, s4
	s_mul_i32 s5, s2, 12
	s_add_u32 s4, s2, 1
	v_sub_co_u32 v1, s0, s0, s5
	s_mul_hi_u32 s5, s2, 12
	s_addc_u32 s7, s3, 0
	s_mul_i32 s8, s3, 12
	v_sub_co_u32 v2, s9, v1, 12
	s_add_u32 s20, s2, 2
	s_addc_u32 s21, s3, 0
	s_add_i32 s5, s5, s8
	s_cmp_lg_u32 s0, 0
	v_readfirstlane_b32 s0, v2
	s_subb_u32 s1, s1, s5
	s_cmp_lg_u32 s9, 0
	s_mov_b64 s[8:9], 0
	s_subb_u32 s5, s1, 0
	s_cmp_gt_u32 s0, 11
	s_cselect_b32 s0, -1, 0
	s_cmp_eq_u32 s5, 0
	v_readfirstlane_b32 s5, v1
	s_cselect_b32 s0, s0, -1
	s_cmp_lg_u32 s0, 0
	s_cselect_b32 s0, s20, s4
	s_cselect_b32 s4, s21, s7
	s_cmp_gt_u32 s5, 11
	s_mov_b32 s7, 0
	s_cselect_b32 s5, -1, 0
	s_cmp_eq_u32 s1, 0
	s_cselect_b32 s1, s5, -1
	s_cmp_lg_u32 s1, 0
	s_cselect_b32 s0, s0, s2
	s_cselect_b32 s1, s4, s3
	s_add_u32 s34, s0, 1
	s_addc_u32 s35, s1, 0
	v_cmp_lt_u64_e64 s0, s[6:7], s[34:35]
	s_and_b32 vcc_lo, exec_lo, s0
	s_cbranch_vccnz .LBB0_5
; %bb.4:
	v_cvt_f32_u32_e32 v1, s34
	s_sub_i32 s1, 0, s34
	s_mov_b32 s9, s7
	v_rcp_iflag_f32_e32 v1, v1
	v_mul_f32_e32 v1, 0x4f7ffffe, v1
	v_cvt_u32_f32_e32 v1, v1
	v_readfirstlane_b32 s0, v1
	s_mul_i32 s1, s1, s0
	s_mul_hi_u32 s1, s0, s1
	s_add_i32 s0, s0, s1
	s_mul_hi_u32 s0, s6, s0
	s_mul_i32 s1, s0, s34
	s_add_i32 s2, s0, 1
	s_sub_i32 s1, s6, s1
	s_sub_i32 s3, s1, s34
	s_cmp_ge_u32 s1, s34
	s_cselect_b32 s0, s2, s0
	s_cselect_b32 s1, s3, s1
	s_add_i32 s2, s0, 1
	s_cmp_ge_u32 s1, s34
	s_cselect_b32 s8, s2, s0
.LBB0_5:
	s_load_dwordx4 s[0:3], s[14:15], 0x0
	s_load_dwordx4 s[20:23], s[26:27], 0x0
	s_mul_i32 s4, s8, s35
	s_mul_hi_u32 s5, s8, s34
	s_mul_i32 s30, s8, s34
	s_add_i32 s5, s5, s4
	s_sub_u32 s48, s6, s30
	s_subb_u32 s4, 0, s5
	v_cmp_lt_u64_e64 s31, s[10:11], 3
	s_mul_hi_u32 s33, s48, 12
	s_mul_i32 s4, s4, 12
	s_mul_i32 s48, s48, 12
	s_add_i32 s33, s33, s4
	s_and_b32 vcc_lo, exec_lo, s31
	s_waitcnt lgkmcnt(0)
	s_mul_i32 s4, s2, s33
	s_mul_hi_u32 s5, s2, s48
	s_mul_i32 s36, s22, s33
	s_mul_hi_u32 s37, s22, s48
	s_mul_i32 s31, s3, s48
	s_mul_i32 s38, s23, s48
	s_add_i32 s4, s5, s4
	s_add_i32 s5, s37, s36
	s_mul_i32 s30, s2, s48
	s_add_i32 s31, s4, s31
	s_add_i32 s5, s5, s38
	s_mul_i32 s4, s22, s48
	s_cbranch_vccnz .LBB0_15
; %bb.6:
	s_add_u32 s36, s26, 16
	s_addc_u32 s37, s27, 0
	s_add_u32 s38, s14, 16
	s_addc_u32 s39, s15, 0
	;; [unrolled: 2-line block ×3, first 2 shown]
	s_mov_b64 s[40:41], 2
	s_mov_b32 s42, 0
.LBB0_7:                                ; =>This Inner Loop Header: Depth=1
	s_load_dwordx2 s[44:45], s[12:13], 0x0
	s_waitcnt lgkmcnt(0)
	s_or_b64 s[46:47], s[8:9], s[44:45]
	s_mov_b32 s43, s47
                                        ; implicit-def: $sgpr46_sgpr47
	s_cmp_lg_u64 s[42:43], 0
	s_mov_b32 s43, -1
	s_cbranch_scc0 .LBB0_9
; %bb.8:                                ;   in Loop: Header=BB0_7 Depth=1
	v_cvt_f32_u32_e32 v1, s44
	v_cvt_f32_u32_e32 v2, s45
	s_sub_u32 s47, 0, s44
	s_subb_u32 s49, 0, s45
	v_fmac_f32_e32 v1, 0x4f800000, v2
	v_rcp_f32_e32 v1, v1
	v_mul_f32_e32 v1, 0x5f7ffffc, v1
	v_mul_f32_e32 v2, 0x2f800000, v1
	v_trunc_f32_e32 v2, v2
	v_fmac_f32_e32 v1, 0xcf800000, v2
	v_cvt_u32_f32_e32 v2, v2
	v_cvt_u32_f32_e32 v1, v1
	v_readfirstlane_b32 s43, v2
	v_readfirstlane_b32 s46, v1
	s_mul_i32 s50, s47, s43
	s_mul_hi_u32 s52, s47, s46
	s_mul_i32 s51, s49, s46
	s_add_i32 s50, s52, s50
	s_mul_i32 s53, s47, s46
	s_add_i32 s50, s50, s51
	s_mul_hi_u32 s52, s46, s53
	s_mul_hi_u32 s54, s43, s53
	s_mul_i32 s51, s43, s53
	s_mul_hi_u32 s53, s46, s50
	s_mul_i32 s46, s46, s50
	s_mul_hi_u32 s55, s43, s50
	s_add_u32 s46, s52, s46
	s_addc_u32 s52, 0, s53
	s_add_u32 s46, s46, s51
	s_mul_i32 s50, s43, s50
	s_addc_u32 s46, s52, s54
	s_addc_u32 s51, s55, 0
	s_add_u32 s46, s46, s50
	s_addc_u32 s50, 0, s51
	v_add_co_u32 v1, s46, v1, s46
	s_cmp_lg_u32 s46, 0
	s_addc_u32 s43, s43, s50
	v_readfirstlane_b32 s46, v1
	s_mul_i32 s50, s47, s43
	s_mul_hi_u32 s51, s47, s46
	s_mul_i32 s49, s49, s46
	s_add_i32 s50, s51, s50
	s_mul_i32 s47, s47, s46
	s_add_i32 s50, s50, s49
	s_mul_hi_u32 s51, s43, s47
	s_mul_i32 s52, s43, s47
	s_mul_hi_u32 s47, s46, s47
	s_mul_hi_u32 s53, s46, s50
	s_mul_i32 s46, s46, s50
	s_mul_hi_u32 s49, s43, s50
	s_add_u32 s46, s47, s46
	s_addc_u32 s47, 0, s53
	s_add_u32 s46, s46, s52
	s_mul_i32 s50, s43, s50
	s_addc_u32 s46, s47, s51
	s_addc_u32 s47, s49, 0
	s_add_u32 s46, s46, s50
	s_addc_u32 s47, 0, s47
	v_add_co_u32 v1, s46, v1, s46
	s_cmp_lg_u32 s46, 0
	s_addc_u32 s43, s43, s47
	v_readfirstlane_b32 s46, v1
	s_mul_i32 s49, s8, s43
	s_mul_hi_u32 s47, s8, s43
	s_mul_hi_u32 s50, s9, s43
	s_mul_i32 s43, s9, s43
	s_mul_hi_u32 s51, s8, s46
	s_mul_hi_u32 s52, s9, s46
	s_mul_i32 s46, s9, s46
	s_add_u32 s49, s51, s49
	s_addc_u32 s47, 0, s47
	s_add_u32 s46, s49, s46
	s_addc_u32 s46, s47, s52
	s_addc_u32 s47, s50, 0
	s_add_u32 s46, s46, s43
	s_addc_u32 s47, 0, s47
	s_mul_hi_u32 s43, s44, s46
	s_mul_i32 s50, s44, s47
	s_mul_i32 s51, s44, s46
	s_add_i32 s43, s43, s50
	v_sub_co_u32 v1, s50, s8, s51
	s_mul_i32 s49, s45, s46
	s_add_i32 s43, s43, s49
	v_sub_co_u32 v2, s51, v1, s44
	s_sub_i32 s49, s9, s43
	s_cmp_lg_u32 s50, 0
	s_subb_u32 s49, s49, s45
	s_cmp_lg_u32 s51, 0
	v_readfirstlane_b32 s51, v2
	s_subb_u32 s49, s49, 0
	s_cmp_ge_u32 s49, s45
	s_cselect_b32 s52, -1, 0
	s_cmp_ge_u32 s51, s44
	s_cselect_b32 s51, -1, 0
	s_cmp_eq_u32 s49, s45
	s_cselect_b32 s49, s51, s52
	s_add_u32 s51, s46, 1
	s_addc_u32 s52, s47, 0
	s_add_u32 s53, s46, 2
	s_addc_u32 s54, s47, 0
	s_cmp_lg_u32 s49, 0
	s_cselect_b32 s49, s53, s51
	s_cselect_b32 s51, s54, s52
	s_cmp_lg_u32 s50, 0
	v_readfirstlane_b32 s50, v1
	s_subb_u32 s43, s9, s43
	s_cmp_ge_u32 s43, s45
	s_cselect_b32 s52, -1, 0
	s_cmp_ge_u32 s50, s44
	s_cselect_b32 s50, -1, 0
	s_cmp_eq_u32 s43, s45
	s_cselect_b32 s43, s50, s52
	s_cmp_lg_u32 s43, 0
	s_mov_b32 s43, 0
	s_cselect_b32 s47, s51, s47
	s_cselect_b32 s46, s49, s46
.LBB0_9:                                ;   in Loop: Header=BB0_7 Depth=1
	s_andn2_b32 vcc_lo, exec_lo, s43
	s_cbranch_vccnz .LBB0_11
; %bb.10:                               ;   in Loop: Header=BB0_7 Depth=1
	v_cvt_f32_u32_e32 v1, s44
	s_sub_i32 s46, 0, s44
	v_rcp_iflag_f32_e32 v1, v1
	v_mul_f32_e32 v1, 0x4f7ffffe, v1
	v_cvt_u32_f32_e32 v1, v1
	v_readfirstlane_b32 s43, v1
	s_mul_i32 s46, s46, s43
	s_mul_hi_u32 s46, s43, s46
	s_add_i32 s43, s43, s46
	s_mul_hi_u32 s43, s8, s43
	s_mul_i32 s46, s43, s44
	s_add_i32 s47, s43, 1
	s_sub_i32 s46, s8, s46
	s_sub_i32 s49, s46, s44
	s_cmp_ge_u32 s46, s44
	s_cselect_b32 s43, s47, s43
	s_cselect_b32 s46, s49, s46
	s_add_i32 s47, s43, 1
	s_cmp_ge_u32 s46, s44
	s_cselect_b32 s46, s47, s43
	s_mov_b32 s47, s42
.LBB0_11:                               ;   in Loop: Header=BB0_7 Depth=1
	s_load_dwordx2 s[50:51], s[38:39], 0x0
	s_load_dwordx2 s[52:53], s[36:37], 0x0
	s_mul_i32 s35, s44, s35
	s_mul_hi_u32 s43, s44, s34
	s_mul_i32 s49, s45, s34
	s_mul_i32 s45, s46, s45
	s_mul_hi_u32 s54, s46, s44
	s_mul_i32 s55, s47, s44
	s_add_i32 s35, s43, s35
	s_add_i32 s43, s54, s45
	s_mul_i32 s56, s46, s44
	s_add_i32 s35, s35, s49
	s_add_i32 s43, s43, s55
	s_sub_u32 s8, s8, s56
	s_subb_u32 s9, s9, s43
	s_mul_i32 s34, s44, s34
	s_waitcnt lgkmcnt(0)
	s_mul_i32 s43, s50, s9
	s_mul_hi_u32 s45, s50, s8
	s_mul_i32 s49, s51, s8
	s_add_i32 s43, s45, s43
	s_mul_i32 s50, s50, s8
	s_mul_i32 s9, s52, s9
	s_mul_hi_u32 s45, s52, s8
	s_add_i32 s43, s43, s49
	s_add_u32 s30, s50, s30
	s_addc_u32 s31, s43, s31
	s_add_i32 s9, s45, s9
	s_mul_i32 s43, s53, s8
	s_mul_i32 s8, s52, s8
	s_add_i32 s9, s9, s43
	s_add_u32 s4, s8, s4
	s_addc_u32 s5, s9, s5
	s_add_u32 s40, s40, 1
	s_addc_u32 s41, s41, 0
	s_add_u32 s36, s36, 8
	v_cmp_ge_u64_e64 s8, s[40:41], s[10:11]
	s_addc_u32 s37, s37, 0
	s_add_u32 s38, s38, 8
	s_addc_u32 s39, s39, 0
	s_add_u32 s12, s12, 8
	s_addc_u32 s13, s13, 0
	s_and_b32 vcc_lo, exec_lo, s8
	s_cbranch_vccnz .LBB0_13
; %bb.12:                               ;   in Loop: Header=BB0_7 Depth=1
	s_mov_b64 s[8:9], s[46:47]
	s_branch .LBB0_7
.LBB0_13:
	v_cmp_lt_u64_e64 s7, s[6:7], s[34:35]
	s_mov_b64 s[8:9], 0
	s_and_b32 vcc_lo, exec_lo, s7
	s_cbranch_vccnz .LBB0_15
; %bb.14:
	v_cvt_f32_u32_e32 v1, s34
	s_sub_i32 s8, 0, s34
	v_rcp_iflag_f32_e32 v1, v1
	v_mul_f32_e32 v1, 0x4f7ffffe, v1
	v_cvt_u32_f32_e32 v1, v1
	v_readfirstlane_b32 s7, v1
	s_mul_i32 s8, s8, s7
	s_mul_hi_u32 s8, s7, s8
	s_add_i32 s7, s7, s8
	s_mul_hi_u32 s7, s6, s7
	s_mul_i32 s8, s7, s34
	s_sub_i32 s6, s6, s8
	s_add_i32 s8, s7, 1
	s_sub_i32 s9, s6, s34
	s_cmp_ge_u32 s6, s34
	s_cselect_b32 s7, s8, s7
	s_cselect_b32 s6, s9, s6
	s_add_i32 s8, s7, 1
	s_cmp_ge_u32 s6, s34
	s_cselect_b32 s8, s8, s7
.LBB0_15:
	v_mul_hi_u32 v81, 0x15555556, v0
	s_lshl_b64 s[10:11], s[10:11], 3
	v_mov_b32_e32 v28, 0
	s_add_u32 s6, s26, s10
	s_addc_u32 s7, s27, s11
	s_add_u32 s12, s48, 12
	s_addc_u32 s13, s33, 0
	v_cmp_le_u64_e64 s9, s[12:13], s[28:29]
	v_mul_u32_u24_e32 v1, 12, v81
	v_lshlrev_b32_e32 v83, 4, v81
	v_add_nc_u32_e32 v80, 13, v81
	v_add_nc_u32_e32 v78, 26, v81
	;; [unrolled: 1-line block ×3, first 2 shown]
	v_sub_nc_u32_e32 v82, v0, v1
	v_add_nc_u32_e32 v77, 52, v81
	v_add_nc_u32_e32 v76, 0x41, v81
	;; [unrolled: 1-line block ×4, first 2 shown]
	v_add_co_u32 v1, s12, s48, v82
	v_add_co_ci_u32_e64 v2, null, s33, 0, s12
	v_mul_lo_u32 v84, 0xa90, v82
	v_add_nc_u32_e32 v73, 0x68, v81
	v_add_nc_u32_e32 v72, 0x75, v81
	v_cmp_gt_u64_e32 vcc_lo, s[28:29], v[1:2]
	v_add_nc_u32_e32 v71, 0x82, v81
	v_add_nc_u32_e32 v70, 0x8f, v81
	;; [unrolled: 1-line block ×3, first 2 shown]
	s_or_b32 s9, s9, vcc_lo
	s_and_saveexec_b32 s12, s9
	s_cbranch_execz .LBB0_17
; %bb.16:
	s_add_u32 s10, s14, s10
	s_addc_u32 s11, s15, s11
	v_mad_u64_u32 v[1:2], null, s2, v82, 0
	s_load_dwordx2 s[10:11], s[10:11], 0x0
	v_mad_u64_u32 v[3:4], null, s0, v81, 0
	v_mad_u64_u32 v[5:6], null, s0, v80, 0
	;; [unrolled: 1-line block ×8, first 2 shown]
	v_mov_b32_e32 v2, v9
	v_mad_u64_u32 v[17:18], null, s0, v75, 0
	s_waitcnt lgkmcnt(0)
	s_mul_i32 s3, s11, s8
	v_mov_b32_e32 v6, v11
	v_mad_u64_u32 v[11:12], null, s0, v79, 0
	s_mul_hi_u32 s11, s10, s8
	s_mul_i32 s2, s10, s8
	s_add_i32 s3, s11, s3
	v_mad_u64_u32 v[19:20], null, s0, v74, 0
	v_mad_u64_u32 v[23:24], null, s0, v72, 0
	s_lshl_b64 s[2:3], s[2:3], 4
	v_mad_u64_u32 v[21:22], null, s0, v73, 0
	v_mad_u64_u32 v[25:26], null, s0, v71, 0
	v_mov_b32_e32 v4, v10
	v_lshlrev_b64 v[1:2], 4, v[1:2]
	s_add_u32 s10, s16, s2
	v_mad_u64_u32 v[33:34], null, s1, v79, v[12:13]
	s_addc_u32 s11, s17, s3
	s_lshl_b64 s[2:3], s[30:31], 4
	v_mad_u64_u32 v[8:9], null, s1, v78, v[8:9]
	v_mad_u64_u32 v[31:32], null, s0, v69, 0
	s_add_u32 s2, s10, s2
	v_mad_u64_u32 v[34:35], null, s1, v77, v[14:15]
	v_lshlrev_b64 v[3:4], 4, v[3:4]
	v_mad_u64_u32 v[35:36], null, s1, v76, v[16:17]
	s_addc_u32 s3, s11, s3
	v_add_co_u32 v47, vcc_lo, s2, v1
	v_mad_u64_u32 v[36:37], null, s1, v75, v[18:19]
	v_mov_b32_e32 v18, v24
	v_mad_u64_u32 v[29:30], null, s0, v70, 0
	v_mad_u64_u32 v[37:38], null, s1, v74, v[20:21]
	v_mov_b32_e32 v16, v22
	v_mov_b32_e32 v20, v26
	v_add_co_ci_u32_e32 v48, vcc_lo, s3, v2, vcc_lo
	v_lshlrev_b64 v[1:2], 4, v[5:6]
	v_mov_b32_e32 v12, v33
	v_add_co_u32 v3, vcc_lo, v47, v3
	v_lshlrev_b64 v[5:6], 4, v[7:8]
	v_mov_b32_e32 v24, v32
	v_mad_u64_u32 v[32:33], null, s1, v72, v[18:19]
	v_mov_b32_e32 v14, v34
	v_mad_u64_u32 v[26:27], null, s1, v73, v[16:17]
	v_mad_u64_u32 v[33:34], null, s1, v71, v[20:21]
	v_add_co_ci_u32_e32 v4, vcc_lo, v48, v4, vcc_lo
	v_add_co_u32 v7, vcc_lo, v47, v1
	v_lshlrev_b64 v[11:12], 4, v[11:12]
	v_mov_b32_e32 v22, v30
	v_mov_b32_e32 v16, v35
	v_add_co_ci_u32_e32 v8, vcc_lo, v48, v2, vcc_lo
	v_add_co_u32 v9, vcc_lo, v47, v5
	v_lshlrev_b64 v[13:14], 4, v[13:14]
	v_mov_b32_e32 v18, v36
	v_add_co_ci_u32_e32 v10, vcc_lo, v48, v6, vcc_lo
	v_mad_u64_u32 v[38:39], null, s1, v70, v[22:23]
	v_mov_b32_e32 v22, v26
	v_mov_b32_e32 v26, v33
	v_lshlrev_b64 v[15:16], 4, v[15:16]
	v_add_co_u32 v33, vcc_lo, v47, v11
	v_mad_u64_u32 v[39:40], null, s1, v69, v[24:25]
	v_mov_b32_e32 v20, v37
	v_add_co_ci_u32_e32 v34, vcc_lo, v48, v12, vcc_lo
	v_lshlrev_b64 v[17:18], 4, v[17:18]
	v_add_co_u32 v35, vcc_lo, v47, v13
	v_add_co_ci_u32_e32 v36, vcc_lo, v48, v14, vcc_lo
	v_lshlrev_b64 v[19:20], 4, v[19:20]
	v_add_co_u32 v37, vcc_lo, v47, v15
	v_mov_b32_e32 v24, v32
	v_mov_b32_e32 v30, v38
	v_add_co_ci_u32_e32 v38, vcc_lo, v48, v16, vcc_lo
	v_mov_b32_e32 v32, v39
	v_lshlrev_b64 v[21:22], 4, v[21:22]
	v_add_co_u32 v39, vcc_lo, v47, v17
	v_add_co_ci_u32_e32 v40, vcc_lo, v48, v18, vcc_lo
	v_lshlrev_b64 v[23:24], 4, v[23:24]
	v_add_co_u32 v41, vcc_lo, v47, v19
	v_add_co_ci_u32_e32 v42, vcc_lo, v48, v20, vcc_lo
	;; [unrolled: 3-line block ×5, first 2 shown]
	v_add_co_u32 v49, vcc_lo, v47, v29
	v_add_co_ci_u32_e32 v50, vcc_lo, v48, v30, vcc_lo
	v_add_co_u32 v53, vcc_lo, v47, v31
	v_add_co_ci_u32_e32 v54, vcc_lo, v48, v32, vcc_lo
	s_clause 0xc
	global_load_dwordx4 v[1:4], v[3:4], off
	global_load_dwordx4 v[5:8], v[7:8], off
	;; [unrolled: 1-line block ×13, first 2 shown]
	v_add3_u32 v25, 0, v84, v83
	s_waitcnt vmcnt(12)
	ds_write_b128 v25, v[1:4]
	s_waitcnt vmcnt(11)
	ds_write_b128 v25, v[5:8] offset:208
	s_waitcnt vmcnt(10)
	ds_write_b128 v25, v[9:12] offset:416
	;; [unrolled: 2-line block ×12, first 2 shown]
.LBB0_17:
	s_or_b32 exec_lo, exec_lo, s12
	v_mul_hi_u32 v5, 0x13b13b14, v0
	s_load_dwordx2 s[2:3], s[6:7], 0x0
	s_waitcnt lgkmcnt(0)
	s_barrier
	buffer_gl0_inv
	s_mov_b32 s28, 0x42a4c3d2
	s_mov_b32 s40, 0x66966769
	;; [unrolled: 1-line block ×3, first 2 shown]
	v_add_co_u32 v86, s0, s48, v5
	v_add_co_ci_u32_e64 v6, null, s33, 0, s0
	s_add_u32 s0, 0, 0x55540000
	s_addc_u32 s1, 0, 0x55
	s_mul_hi_u32 s11, s0, -12
	s_add_i32 s1, s1, 0x15555500
	s_sub_i32 s11, s11, s0
	s_mul_i32 s12, s1, -12
	s_mul_i32 s6, s0, -12
	s_add_i32 s11, s11, s12
	s_mul_hi_u32 s7, s1, s6
	s_mul_i32 s10, s1, s6
	s_mul_i32 s13, s0, s11
	s_mul_hi_u32 s6, s0, s6
	s_mul_hi_u32 s12, s0, s11
	s_add_u32 s6, s6, s13
	s_addc_u32 s12, 0, s12
	s_mul_hi_u32 s13, s1, s11
	s_add_u32 s6, s6, s10
	s_addc_u32 s6, s12, s7
	s_mul_i32 s10, s1, s11
	s_addc_u32 s7, s13, 0
	s_add_u32 s6, s6, s10
	s_addc_u32 s7, 0, s7
	v_add_co_u32 v3, s0, s0, s6
	s_cmp_lg_u32 s0, 0
	s_mov_b32 s48, 0x4267c47c
	s_addc_u32 s0, s1, s7
	v_mul_hi_u32 v4, v86, v3
	v_mad_u64_u32 v[1:2], null, v86, s0, 0
	s_mov_b32 s26, 0x24c2f84
	s_mov_b32 s34, 0x4bc48dbf
	s_mov_b32 s49, 0xbfddbe06
	s_mov_b32 s29, 0xbfea55e2
	s_mov_b32 s41, 0xbfefc445
	s_mov_b32 s15, 0xbfedeba7
	v_add_co_u32 v7, vcc_lo, v4, v1
	v_mad_u64_u32 v[3:4], null, v6, v3, 0
	v_add_co_ci_u32_e32 v8, vcc_lo, 0, v2, vcc_lo
	v_mad_u64_u32 v[1:2], null, v6, s0, 0
	s_mov_b32 s27, 0xbfe5384d
	s_mov_b32 s35, 0xbfcea1e5
	v_add_co_u32 v3, vcc_lo, v7, v3
	v_add_co_ci_u32_e32 v3, vcc_lo, v8, v4, vcc_lo
	v_add_co_ci_u32_e32 v2, vcc_lo, 0, v2, vcc_lo
	s_mov_b32 s10, 0xe00740e9
	v_add_co_u32 v1, vcc_lo, v3, v1
	v_add_co_ci_u32_e32 v3, vcc_lo, 0, v2, vcc_lo
	s_mov_b32 s6, 0x1ea71119
	v_mad_u64_u32 v[1:2], null, v1, 12, 0
	s_mov_b32 s12, 0xb2365da1
	s_mov_b32 s16, 0xd0032e0c
	;; [unrolled: 1-line block ×6, first 2 shown]
	v_mad_u64_u32 v[2:3], null, v3, 12, v[2:3]
	v_sub_co_u32 v1, vcc_lo, v86, v1
	s_mov_b32 s17, 0xbfe7f3cc
	s_mov_b32 s31, 0xbfef11f4
	;; [unrolled: 1-line block ×4, first 2 shown]
	v_sub_co_ci_u32_e32 v2, vcc_lo, v6, v2, vcc_lo
	v_sub_co_u32 v3, vcc_lo, v1, 12
	s_mov_b32 s37, 0x3fefc445
	v_subrev_co_ci_u32_e32 v4, vcc_lo, 0, v2, vcc_lo
	v_cmp_lt_u32_e64 s0, 11, v3
	s_mov_b32 s36, s40
	s_mov_b32 s39, 0x3fddbe06
	v_cmp_eq_u32_e32 vcc_lo, 0, v4
	s_mov_b32 s38, s48
	v_cndmask_b32_e64 v4, 0, -1, s0
	v_cmp_lt_u32_e64 s0, 11, v1
	s_mov_b32 s51, 0x3fedeba7
	s_mov_b32 s50, s14
	;; [unrolled: 1-line block ×3, first 2 shown]
	v_cndmask_b32_e32 v4, -1, v4, vcc_lo
	s_mov_b32 s46, s34
	s_mov_b32 s45, 0x3fea55e2
	;; [unrolled: 1-line block ×3, first 2 shown]
	v_cmp_ne_u32_e32 vcc_lo, 0, v4
	v_add_nc_u32_e32 v4, -12, v3
	v_cndmask_b32_e32 v3, v3, v4, vcc_lo
	v_cmp_eq_u32_e32 vcc_lo, 0, v2
	v_cndmask_b32_e64 v2, 0, -1, s0
	s_mov_b32 s0, 0xebaa3ed8
	s_mov_b32 s1, 0x3fbedb7d
	v_cndmask_b32_e32 v2, -1, v2, vcc_lo
	v_cmp_ne_u32_e32 vcc_lo, 0, v2
	v_mul_u32_u24_e32 v2, 13, v5
	v_cndmask_b32_e32 v1, v1, v3, vcc_lo
	v_sub_nc_u32_e32 v87, v0, v2
	v_mul_u32_u24_e32 v1, 0xa9, v1
	v_lshlrev_b32_e32 v0, 4, v1
	v_lshlrev_b32_e32 v1, 4, v87
	v_add_nc_u32_e32 v89, 0, v0
	v_add3_u32 v85, 0, v1, v0
	v_add_nc_u32_e32 v88, v89, v1
	ds_read_b128 v[12:15], v88
	ds_read_b128 v[16:19], v85 offset:208
	ds_read_b128 v[20:23], v85 offset:416
	;; [unrolled: 1-line block ×12, first 2 shown]
	s_waitcnt lgkmcnt(0)
	s_barrier
	buffer_gl0_inv
	v_add_f64 v[0:1], v[12:13], v[16:17]
	v_add_f64 v[2:3], v[14:15], v[18:19]
	;; [unrolled: 1-line block ×3, first 2 shown]
	v_add_f64 v[18:19], v[18:19], -v[55:56]
	v_add_f64 v[57:58], v[16:17], v[53:54]
	v_add_f64 v[16:17], v[16:17], -v[53:54]
	v_add_f64 v[0:1], v[0:1], v[20:21]
	v_add_f64 v[2:3], v[2:3], v[22:23]
	v_mul_f64 v[65:66], v[18:19], s[28:29]
	v_mul_f64 v[94:95], v[18:19], s[40:41]
	;; [unrolled: 1-line block ×10, first 2 shown]
	v_add_f64 v[0:1], v[0:1], v[24:25]
	v_add_f64 v[2:3], v[2:3], v[26:27]
	v_fma_f64 v[67:68], v[57:58], s[6:7], -v[65:66]
	v_fma_f64 v[65:66], v[57:58], s[6:7], v[65:66]
	v_fma_f64 v[96:97], v[57:58], s[0:1], -v[94:95]
	v_fma_f64 v[94:95], v[57:58], s[0:1], v[94:95]
	;; [unrolled: 2-line block ×4, first 2 shown]
	v_fma_f64 v[63:64], v[59:60], s[10:11], v[61:62]
	v_fma_f64 v[61:62], v[59:60], s[10:11], -v[61:62]
	v_fma_f64 v[92:93], v[59:60], s[6:7], v[90:91]
	v_fma_f64 v[90:91], v[59:60], s[6:7], -v[90:91]
	;; [unrolled: 2-line block ×5, first 2 shown]
	v_fma_f64 v[120:121], v[59:60], s[30:31], v[16:17]
	v_add_f64 v[0:1], v[0:1], v[29:30]
	v_add_f64 v[2:3], v[2:3], v[31:32]
	v_fma_f64 v[16:17], v[59:60], s[30:31], -v[16:17]
	v_add_f64 v[67:68], v[12:13], v[67:68]
	v_add_f64 v[65:66], v[12:13], v[65:66]
	;; [unrolled: 1-line block ×23, first 2 shown]
	v_add_f64 v[20:21], v[20:21], -v[49:50]
	v_add_f64 v[0:1], v[0:1], v[4:5]
	v_add_f64 v[2:3], v[2:3], v[6:7]
	;; [unrolled: 1-line block ×13, first 2 shown]
	v_mul_f64 v[53:54], v[18:19], s[48:49]
	v_mul_f64 v[18:19], v[18:19], s[34:35]
	v_add_f64 v[2:3], v[2:3], v[55:56]
	v_fma_f64 v[55:56], v[57:58], s[10:11], -v[53:54]
	v_fma_f64 v[53:54], v[57:58], s[10:11], v[53:54]
	v_fma_f64 v[118:119], v[57:58], s[30:31], -v[18:19]
	v_fma_f64 v[18:19], v[57:58], s[30:31], v[18:19]
	v_add_f64 v[55:56], v[12:13], v[55:56]
	v_add_f64 v[53:54], v[12:13], v[53:54]
	v_add_f64 v[118:119], v[12:13], v[118:119]
	v_add_f64 v[12:13], v[12:13], v[18:19]
	v_add_f64 v[18:19], v[22:23], v[51:52]
	v_add_f64 v[22:23], v[22:23], -v[51:52]
	v_mul_f64 v[49:50], v[22:23], s[28:29]
	v_fma_f64 v[51:52], v[16:17], s[6:7], -v[49:50]
	v_fma_f64 v[49:50], v[16:17], s[6:7], v[49:50]
	v_add_f64 v[51:52], v[51:52], v[55:56]
	v_mul_f64 v[55:56], v[20:21], s[28:29]
	v_add_f64 v[49:50], v[49:50], v[53:54]
	v_fma_f64 v[57:58], v[18:19], s[6:7], v[55:56]
	v_fma_f64 v[53:54], v[18:19], s[6:7], -v[55:56]
	v_mul_f64 v[55:56], v[22:23], s[14:15]
	v_add_f64 v[57:58], v[57:58], v[63:64]
	v_add_f64 v[53:54], v[53:54], v[61:62]
	v_fma_f64 v[59:60], v[16:17], s[12:13], -v[55:56]
	v_fma_f64 v[55:56], v[16:17], s[12:13], v[55:56]
	v_mul_f64 v[61:62], v[20:21], s[14:15]
	v_add_f64 v[59:60], v[59:60], v[67:68]
	v_add_f64 v[55:56], v[55:56], v[65:66]
	v_mul_f64 v[65:66], v[22:23], s[34:35]
	v_fma_f64 v[63:64], v[18:19], s[12:13], v[61:62]
	v_fma_f64 v[61:62], v[18:19], s[12:13], -v[61:62]
	v_fma_f64 v[67:68], v[16:17], s[30:31], -v[65:66]
	v_fma_f64 v[65:66], v[16:17], s[30:31], v[65:66]
	v_add_f64 v[61:62], v[61:62], v[90:91]
	v_mul_f64 v[90:91], v[20:21], s[34:35]
	v_add_f64 v[63:64], v[63:64], v[92:93]
	v_add_f64 v[67:68], v[67:68], v[96:97]
	;; [unrolled: 1-line block ×3, first 2 shown]
	v_mul_f64 v[94:95], v[22:23], s[42:43]
	v_fma_f64 v[92:93], v[18:19], s[30:31], v[90:91]
	v_fma_f64 v[90:91], v[18:19], s[30:31], -v[90:91]
	v_fma_f64 v[96:97], v[16:17], s[16:17], -v[94:95]
	v_fma_f64 v[94:95], v[16:17], s[16:17], v[94:95]
	v_add_f64 v[90:91], v[90:91], v[98:99]
	v_mul_f64 v[98:99], v[20:21], s[42:43]
	v_add_f64 v[92:93], v[92:93], v[100:101]
	v_add_f64 v[96:97], v[96:97], v[104:105]
	;; [unrolled: 1-line block ×3, first 2 shown]
	v_mul_f64 v[102:103], v[22:23], s[36:37]
	v_fma_f64 v[100:101], v[18:19], s[16:17], v[98:99]
	v_fma_f64 v[98:99], v[18:19], s[16:17], -v[98:99]
	v_mul_f64 v[22:23], v[22:23], s[38:39]
	v_fma_f64 v[104:105], v[16:17], s[0:1], -v[102:103]
	v_fma_f64 v[102:103], v[16:17], s[0:1], v[102:103]
	v_add_f64 v[98:99], v[98:99], v[106:107]
	v_mul_f64 v[106:107], v[20:21], s[36:37]
	v_mul_f64 v[20:21], v[20:21], s[38:39]
	v_add_f64 v[100:101], v[100:101], v[108:109]
	v_add_f64 v[104:105], v[104:105], v[112:113]
	;; [unrolled: 1-line block ×3, first 2 shown]
	v_fma_f64 v[110:111], v[16:17], s[10:11], -v[22:23]
	v_fma_f64 v[16:17], v[16:17], s[10:11], v[22:23]
	v_add_f64 v[22:23], v[26:27], -v[47:48]
	v_fma_f64 v[112:113], v[18:19], s[10:11], v[20:21]
	v_fma_f64 v[108:109], v[18:19], s[0:1], v[106:107]
	v_fma_f64 v[106:107], v[18:19], s[0:1], -v[106:107]
	v_add_f64 v[110:111], v[110:111], v[118:119]
	v_add_f64 v[12:13], v[16:17], v[12:13]
	v_fma_f64 v[16:17], v[18:19], s[10:11], -v[20:21]
	v_add_f64 v[20:21], v[24:25], -v[45:46]
	v_add_f64 v[18:19], v[26:27], v[47:48]
	v_add_f64 v[106:107], v[106:107], v[114:115]
	;; [unrolled: 1-line block ×6, first 2 shown]
	v_mul_f64 v[24:25], v[22:23], s[40:41]
	v_mul_f64 v[45:46], v[20:21], s[40:41]
	v_fma_f64 v[26:27], v[16:17], s[0:1], -v[24:25]
	v_fma_f64 v[24:25], v[16:17], s[0:1], v[24:25]
	v_fma_f64 v[47:48], v[18:19], s[0:1], v[45:46]
	v_fma_f64 v[45:46], v[18:19], s[0:1], -v[45:46]
	v_add_f64 v[26:27], v[26:27], v[51:52]
	v_add_f64 v[24:25], v[24:25], v[49:50]
	v_mul_f64 v[49:50], v[22:23], s[34:35]
	v_add_f64 v[45:46], v[45:46], v[53:54]
	v_mul_f64 v[53:54], v[20:21], s[34:35]
	v_add_f64 v[47:48], v[47:48], v[57:58]
	v_fma_f64 v[51:52], v[16:17], s[30:31], -v[49:50]
	v_fma_f64 v[49:50], v[16:17], s[30:31], v[49:50]
	v_fma_f64 v[57:58], v[18:19], s[30:31], v[53:54]
	v_fma_f64 v[53:54], v[18:19], s[30:31], -v[53:54]
	v_add_f64 v[51:52], v[51:52], v[59:60]
	v_add_f64 v[49:50], v[49:50], v[55:56]
	v_mul_f64 v[55:56], v[22:23], s[50:51]
	v_add_f64 v[53:54], v[53:54], v[61:62]
	v_mul_f64 v[61:62], v[20:21], s[50:51]
	v_add_f64 v[57:58], v[57:58], v[63:64]
	;; [unrolled: 10-line block ×3, first 2 shown]
	v_fma_f64 v[67:68], v[16:17], s[10:11], -v[65:66]
	v_fma_f64 v[65:66], v[16:17], s[10:11], v[65:66]
	v_fma_f64 v[92:93], v[18:19], s[10:11], v[90:91]
	v_fma_f64 v[90:91], v[18:19], s[10:11], -v[90:91]
	v_add_f64 v[67:68], v[67:68], v[96:97]
	v_add_f64 v[65:66], v[65:66], v[94:95]
	v_mul_f64 v[94:95], v[22:23], s[28:29]
	v_mul_f64 v[22:23], v[22:23], s[26:27]
	v_add_f64 v[90:91], v[90:91], v[98:99]
	v_mul_f64 v[98:99], v[20:21], s[28:29]
	v_mul_f64 v[20:21], v[20:21], s[26:27]
	v_add_f64 v[92:93], v[92:93], v[100:101]
	v_fma_f64 v[96:97], v[16:17], s[6:7], -v[94:95]
	v_fma_f64 v[94:95], v[16:17], s[6:7], v[94:95]
	v_fma_f64 v[100:101], v[18:19], s[6:7], v[98:99]
	v_fma_f64 v[98:99], v[18:19], s[6:7], -v[98:99]
	v_add_f64 v[96:97], v[96:97], v[104:105]
	v_add_f64 v[94:95], v[94:95], v[102:103]
	v_fma_f64 v[102:103], v[16:17], s[16:17], -v[22:23]
	v_fma_f64 v[16:17], v[16:17], s[16:17], v[22:23]
	v_add_f64 v[22:23], v[31:32], -v[43:44]
	v_fma_f64 v[104:105], v[18:19], s[16:17], v[20:21]
	v_add_f64 v[98:99], v[98:99], v[106:107]
	v_add_f64 v[100:101], v[100:101], v[108:109]
	;; [unrolled: 1-line block ×4, first 2 shown]
	v_fma_f64 v[16:17], v[18:19], s[16:17], -v[20:21]
	v_add_f64 v[20:21], v[29:30], -v[41:42]
	v_add_f64 v[18:19], v[31:32], v[43:44]
	v_add_f64 v[104:105], v[104:105], v[112:113]
	;; [unrolled: 1-line block ×3, first 2 shown]
	v_add_f64 v[35:36], v[35:36], -v[39:40]
	v_add_f64 v[110:111], v[33:34], v[37:38]
	v_add_f64 v[33:34], v[33:34], -v[37:38]
	v_add_f64 v[14:15], v[16:17], v[14:15]
	v_add_f64 v[16:17], v[29:30], v[41:42]
	v_mul_f64 v[29:30], v[22:23], s[14:15]
	v_fma_f64 v[31:32], v[16:17], s[12:13], -v[29:30]
	v_fma_f64 v[29:30], v[16:17], s[12:13], v[29:30]
	v_add_f64 v[26:27], v[31:32], v[26:27]
	v_mul_f64 v[31:32], v[20:21], s[14:15]
	v_add_f64 v[24:25], v[29:30], v[24:25]
	v_fma_f64 v[29:30], v[18:19], s[12:13], -v[31:32]
	v_fma_f64 v[41:42], v[18:19], s[12:13], v[31:32]
	v_mul_f64 v[31:32], v[22:23], s[42:43]
	v_add_f64 v[29:30], v[29:30], v[45:46]
	v_mul_f64 v[45:46], v[20:21], s[42:43]
	v_add_f64 v[41:42], v[41:42], v[47:48]
	v_fma_f64 v[43:44], v[16:17], s[16:17], -v[31:32]
	v_fma_f64 v[31:32], v[16:17], s[16:17], v[31:32]
	v_fma_f64 v[47:48], v[18:19], s[16:17], v[45:46]
	v_fma_f64 v[45:46], v[18:19], s[16:17], -v[45:46]
	v_add_f64 v[43:44], v[43:44], v[51:52]
	v_add_f64 v[31:32], v[31:32], v[49:50]
	v_mul_f64 v[49:50], v[22:23], s[38:39]
	v_add_f64 v[47:48], v[47:48], v[57:58]
	v_add_f64 v[45:46], v[45:46], v[53:54]
	v_mul_f64 v[53:54], v[20:21], s[38:39]
	v_fma_f64 v[51:52], v[16:17], s[10:11], -v[49:50]
	v_fma_f64 v[49:50], v[16:17], s[10:11], v[49:50]
	v_fma_f64 v[57:58], v[18:19], s[10:11], v[53:54]
	v_fma_f64 v[53:54], v[18:19], s[10:11], -v[53:54]
	v_add_f64 v[51:52], v[51:52], v[59:60]
	v_add_f64 v[49:50], v[49:50], v[55:56]
	;; [unrolled: 1-line block ×4, first 2 shown]
	v_mul_f64 v[53:54], v[22:23], s[40:41]
	v_fma_f64 v[55:56], v[16:17], s[0:1], -v[53:54]
	v_fma_f64 v[53:54], v[16:17], s[0:1], v[53:54]
	v_add_f64 v[67:68], v[55:56], v[67:68]
	v_mul_f64 v[55:56], v[20:21], s[40:41]
	v_add_f64 v[65:66], v[53:54], v[65:66]
	v_fma_f64 v[53:54], v[18:19], s[0:1], -v[55:56]
	v_fma_f64 v[57:58], v[18:19], s[0:1], v[55:56]
	v_add_f64 v[90:91], v[53:54], v[90:91]
	v_mul_f64 v[53:54], v[22:23], s[46:47]
	v_mul_f64 v[22:23], v[22:23], s[44:45]
	v_add_f64 v[92:93], v[57:58], v[92:93]
	v_fma_f64 v[55:56], v[16:17], s[30:31], -v[53:54]
	v_fma_f64 v[53:54], v[16:17], s[30:31], v[53:54]
	v_add_f64 v[96:97], v[55:56], v[96:97]
	v_mul_f64 v[55:56], v[20:21], s[46:47]
	v_add_f64 v[94:95], v[53:54], v[94:95]
	v_mul_f64 v[20:21], v[20:21], s[44:45]
	v_fma_f64 v[53:54], v[18:19], s[30:31], -v[55:56]
	v_fma_f64 v[57:58], v[18:19], s[30:31], v[55:56]
	v_add_f64 v[98:99], v[53:54], v[98:99]
	v_fma_f64 v[53:54], v[16:17], s[6:7], -v[22:23]
	v_fma_f64 v[16:17], v[16:17], s[6:7], v[22:23]
	v_add_f64 v[100:101], v[57:58], v[100:101]
	v_add_f64 v[102:103], v[53:54], v[102:103]
	;; [unrolled: 1-line block ×3, first 2 shown]
	v_fma_f64 v[12:13], v[18:19], s[6:7], -v[20:21]
	v_fma_f64 v[53:54], v[18:19], s[6:7], v[20:21]
	v_mul_f64 v[18:19], v[33:34], s[36:37]
	v_add_f64 v[108:109], v[12:13], v[14:15]
	v_mul_f64 v[12:13], v[35:36], s[26:27]
	v_add_f64 v[104:105], v[53:54], v[104:105]
	v_fma_f64 v[14:15], v[110:111], s[16:17], -v[12:13]
	v_fma_f64 v[12:13], v[110:111], s[16:17], v[12:13]
	v_add_f64 v[59:60], v[14:15], v[26:27]
	v_mul_f64 v[14:15], v[33:34], s[26:27]
	v_add_f64 v[55:56], v[12:13], v[24:25]
	v_mul_f64 v[24:25], v[35:36], s[28:29]
	v_mul_f64 v[26:27], v[33:34], s[28:29]
	v_fma_f64 v[16:17], v[112:113], s[16:17], v[14:15]
	v_fma_f64 v[12:13], v[112:113], s[16:17], -v[14:15]
	v_fma_f64 v[20:21], v[110:111], s[6:7], -v[24:25]
	v_fma_f64 v[14:15], v[112:113], s[0:1], v[18:19]
	v_fma_f64 v[24:25], v[110:111], s[6:7], v[24:25]
	v_fma_f64 v[18:19], v[112:113], s[0:1], -v[18:19]
	v_fma_f64 v[22:23], v[112:113], s[6:7], v[26:27]
	v_fma_f64 v[26:27], v[112:113], s[6:7], -v[26:27]
	v_add_f64 v[57:58], v[16:17], v[41:42]
	v_mul_f64 v[16:17], v[35:36], s[36:37]
	v_add_f64 v[53:54], v[12:13], v[29:30]
	v_mul_f64 v[29:30], v[35:36], s[46:47]
	v_add_f64 v[20:21], v[20:21], v[51:52]
	v_add_f64 v[14:15], v[14:15], v[47:48]
	;; [unrolled: 1-line block ×5, first 2 shown]
	v_mul_f64 v[61:62], v[33:34], s[14:15]
	v_add_f64 v[22:23], v[22:23], v[63:64]
	v_add_f64 v[63:64], v[4:5], v[8:9]
	v_fma_f64 v[12:13], v[110:111], s[0:1], -v[16:17]
	v_fma_f64 v[16:17], v[110:111], s[0:1], v[16:17]
	v_add_f64 v[12:13], v[12:13], v[43:44]
	v_add_f64 v[16:17], v[16:17], v[31:32]
	v_fma_f64 v[31:32], v[110:111], s[30:31], -v[29:30]
	v_fma_f64 v[29:30], v[110:111], s[30:31], v[29:30]
	v_add_f64 v[51:52], v[31:32], v[67:68]
	v_mul_f64 v[31:32], v[33:34], s[46:47]
	v_add_f64 v[47:48], v[29:30], v[65:66]
	v_add_f64 v[65:66], v[4:5], -v[8:9]
	v_add_f64 v[67:68], v[6:7], -v[10:11]
	v_fma_f64 v[29:30], v[112:113], s[30:31], -v[31:32]
	v_fma_f64 v[37:38], v[112:113], s[30:31], v[31:32]
	v_mul_f64 v[8:9], v[67:68], s[34:35]
	v_add_f64 v[49:50], v[29:30], v[90:91]
	v_mul_f64 v[29:30], v[35:36], s[38:39]
	v_add_f64 v[45:46], v[37:38], v[92:93]
	v_fma_f64 v[4:5], v[63:64], s[30:31], -v[8:9]
	v_fma_f64 v[8:9], v[63:64], s[30:31], v[8:9]
	v_fma_f64 v[31:32], v[110:111], s[10:11], -v[29:30]
	v_fma_f64 v[29:30], v[110:111], s[10:11], v[29:30]
	v_add_f64 v[4:5], v[4:5], v[59:60]
	v_add_f64 v[8:9], v[8:9], v[55:56]
	;; [unrolled: 1-line block ×3, first 2 shown]
	v_mul_f64 v[31:32], v[33:34], s[38:39]
	v_add_f64 v[39:40], v[29:30], v[94:95]
	v_fma_f64 v[37:38], v[112:113], s[10:11], v[31:32]
	v_fma_f64 v[29:30], v[112:113], s[10:11], -v[31:32]
	v_add_f64 v[41:42], v[37:38], v[100:101]
	v_add_f64 v[37:38], v[29:30], v[98:99]
	v_mul_f64 v[29:30], v[35:36], s[14:15]
	v_fma_f64 v[31:32], v[110:111], s[12:13], -v[29:30]
	v_fma_f64 v[29:30], v[110:111], s[12:13], v[29:30]
	v_add_f64 v[35:36], v[31:32], v[102:103]
	v_fma_f64 v[31:32], v[112:113], s[12:13], v[61:62]
	v_add_f64 v[33:34], v[31:32], v[104:105]
	v_add_f64 v[31:32], v[29:30], v[106:107]
	v_fma_f64 v[29:30], v[112:113], s[12:13], -v[61:62]
	v_add_f64 v[61:62], v[6:7], v[10:11]
	v_mul_f64 v[10:11], v[65:66], s[34:35]
	v_add_f64 v[29:30], v[29:30], v[108:109]
	v_fma_f64 v[6:7], v[61:62], s[30:31], v[10:11]
	v_fma_f64 v[10:11], v[61:62], s[30:31], -v[10:11]
	v_add_f64 v[6:7], v[6:7], v[57:58]
	v_add_f64 v[10:11], v[10:11], v[53:54]
	v_mul_f64 v[53:54], v[67:68], s[38:39]
	v_fma_f64 v[55:56], v[63:64], s[10:11], -v[53:54]
	v_fma_f64 v[53:54], v[63:64], s[10:11], v[53:54]
	v_add_f64 v[12:13], v[55:56], v[12:13]
	v_mul_f64 v[55:56], v[65:66], s[38:39]
	v_add_f64 v[16:17], v[53:54], v[16:17]
	v_fma_f64 v[53:54], v[61:62], s[10:11], -v[55:56]
	v_fma_f64 v[57:58], v[61:62], s[10:11], v[55:56]
	v_add_f64 v[18:19], v[53:54], v[18:19]
	v_mul_f64 v[53:54], v[67:68], s[26:27]
	v_add_f64 v[14:15], v[57:58], v[14:15]
	;; [unrolled: 5-line block ×3, first 2 shown]
	v_fma_f64 v[57:58], v[61:62], s[16:17], v[55:56]
	v_fma_f64 v[53:54], v[61:62], s[16:17], -v[55:56]
	v_mul_f64 v[55:56], v[67:68], s[44:45]
	v_add_f64 v[22:23], v[57:58], v[22:23]
	v_add_f64 v[26:27], v[53:54], v[26:27]
	v_fma_f64 v[53:54], v[63:64], s[6:7], -v[55:56]
	v_mul_f64 v[57:58], v[65:66], s[44:45]
	v_add_f64 v[51:52], v[53:54], v[51:52]
	v_fma_f64 v[53:54], v[61:62], s[6:7], v[57:58]
	v_add_f64 v[53:54], v[53:54], v[45:46]
	v_fma_f64 v[45:46], v[63:64], s[6:7], v[55:56]
	v_add_f64 v[45:46], v[45:46], v[47:48]
	v_fma_f64 v[47:48], v[61:62], s[6:7], -v[57:58]
	v_add_f64 v[47:48], v[47:48], v[49:50]
	v_mul_f64 v[49:50], v[67:68], s[14:15]
	v_fma_f64 v[55:56], v[63:64], s[12:13], -v[49:50]
	v_add_f64 v[55:56], v[55:56], v[43:44]
	v_mul_f64 v[43:44], v[65:66], s[14:15]
	v_fma_f64 v[57:58], v[61:62], s[12:13], v[43:44]
	v_add_f64 v[57:58], v[57:58], v[41:42]
	v_fma_f64 v[41:42], v[63:64], s[12:13], v[49:50]
	v_mul_f64 v[49:50], v[65:66], s[36:37]
	v_add_f64 v[39:40], v[41:42], v[39:40]
	v_fma_f64 v[41:42], v[61:62], s[12:13], -v[43:44]
	v_mul_f64 v[43:44], v[67:68], s[36:37]
	v_add_f64 v[41:42], v[41:42], v[37:38]
	v_fma_f64 v[37:38], v[63:64], s[0:1], -v[43:44]
	v_add_f64 v[35:36], v[37:38], v[35:36]
	v_fma_f64 v[37:38], v[61:62], s[0:1], v[49:50]
	v_add_f64 v[37:38], v[37:38], v[33:34]
	v_fma_f64 v[33:34], v[63:64], s[0:1], v[43:44]
	v_add_f64 v[31:32], v[33:34], v[31:32]
	v_fma_f64 v[33:34], v[61:62], s[0:1], -v[49:50]
	v_add_f64 v[33:34], v[33:34], v[29:30]
	v_mad_i32_i24 v29, 0xd0, v87, v89
	ds_write_b128 v29, v[0:3]
	ds_write_b128 v29, v[4:7] offset:16
	ds_write_b128 v29, v[12:15] offset:32
	;; [unrolled: 1-line block ×12, first 2 shown]
	v_mul_i32_i24_e32 v27, 12, v87
	s_waitcnt lgkmcnt(0)
	s_barrier
	buffer_gl0_inv
	ds_read_b128 v[6:9], v88
	ds_read_b128 v[0:3], v85 offset:208
	ds_read_b128 v[10:13], v85 offset:416
	;; [unrolled: 1-line block ×12, first 2 shown]
	v_lshlrev_b64 v[4:5], 4, v[27:28]
	v_add_co_u32 v4, vcc_lo, s24, v4
	v_add_co_ci_u32_e32 v5, vcc_lo, s25, v5, vcc_lo
	s_clause 0x3
	global_load_dwordx4 v[57:60], v[4:5], off offset:48
	global_load_dwordx4 v[61:64], v[4:5], off offset:32
	global_load_dwordx4 v[65:68], v[4:5], off offset:16
	global_load_dwordx4 v[88:91], v[4:5], off
	s_waitcnt vmcnt(0) lgkmcnt(11)
	v_mul_f64 v[26:27], v[2:3], v[90:91]
	v_fma_f64 v[26:27], v[0:1], v[88:89], -v[26:27]
	v_mul_f64 v[0:1], v[0:1], v[90:91]
	v_fma_f64 v[88:89], v[2:3], v[88:89], v[0:1]
	s_waitcnt lgkmcnt(10)
	v_mul_f64 v[0:1], v[12:13], v[67:68]
	v_fma_f64 v[90:91], v[10:11], v[65:66], -v[0:1]
	v_mul_f64 v[0:1], v[10:11], v[67:68]
	v_fma_f64 v[65:66], v[12:13], v[65:66], v[0:1]
	s_waitcnt lgkmcnt(9)
	;; [unrolled: 5-line block ×3, first 2 shown]
	v_mul_f64 v[0:1], v[20:21], v[59:60]
	v_fma_f64 v[63:64], v[18:19], v[57:58], -v[0:1]
	v_mul_f64 v[0:1], v[18:19], v[59:60]
	v_fma_f64 v[57:58], v[20:21], v[57:58], v[0:1]
	s_clause 0x3
	global_load_dwordx4 v[0:3], v[4:5], off offset:112
	global_load_dwordx4 v[10:13], v[4:5], off offset:96
	;; [unrolled: 1-line block ×4, first 2 shown]
	s_waitcnt vmcnt(0) lgkmcnt(7)
	v_mul_f64 v[59:60], v[24:25], v[20:21]
	v_mul_f64 v[20:21], v[22:23], v[20:21]
	v_fma_f64 v[59:60], v[22:23], v[18:19], -v[59:60]
	v_fma_f64 v[22:23], v[24:25], v[18:19], v[20:21]
	s_waitcnt lgkmcnt(6)
	v_mul_f64 v[18:19], v[31:32], v[16:17]
	v_mul_f64 v[16:17], v[29:30], v[16:17]
	v_fma_f64 v[24:25], v[29:30], v[14:15], -v[18:19]
	v_fma_f64 v[28:29], v[31:32], v[14:15], v[16:17]
	s_waitcnt lgkmcnt(5)
	;; [unrolled: 5-line block ×3, first 2 shown]
	v_mul_f64 v[10:11], v[39:40], v[2:3]
	v_mul_f64 v[2:3], v[37:38], v[2:3]
	v_fma_f64 v[34:35], v[37:38], v[0:1], -v[10:11]
	v_fma_f64 v[36:37], v[39:40], v[0:1], v[2:3]
	s_clause 0x3
	global_load_dwordx4 v[0:3], v[4:5], off offset:176
	global_load_dwordx4 v[10:13], v[4:5], off offset:160
	;; [unrolled: 1-line block ×4, first 2 shown]
	s_waitcnt vmcnt(0) lgkmcnt(3)
	v_mul_f64 v[4:5], v[43:44], v[20:21]
	v_fma_f64 v[38:39], v[41:42], v[18:19], -v[4:5]
	v_mul_f64 v[4:5], v[41:42], v[20:21]
	v_fma_f64 v[18:19], v[43:44], v[18:19], v[4:5]
	s_waitcnt lgkmcnt(2)
	v_mul_f64 v[4:5], v[47:48], v[16:17]
	v_fma_f64 v[20:21], v[45:46], v[14:15], -v[4:5]
	v_mul_f64 v[4:5], v[45:46], v[16:17]
	v_fma_f64 v[14:15], v[47:48], v[14:15], v[4:5]
	s_waitcnt lgkmcnt(1)
	;; [unrolled: 5-line block ×3, first 2 shown]
	v_mul_f64 v[4:5], v[55:56], v[2:3]
	v_mul_f64 v[2:3], v[53:54], v[2:3]
	v_fma_f64 v[12:13], v[53:54], v[0:1], -v[4:5]
	v_add_f64 v[4:5], v[8:9], v[88:89]
	v_fma_f64 v[0:1], v[55:56], v[0:1], v[2:3]
	v_add_f64 v[2:3], v[6:7], v[26:27]
	v_add_f64 v[40:41], v[26:27], v[12:13]
	;; [unrolled: 1-line block ×24, first 2 shown]
	v_add_f64 v[0:1], v[88:89], -v[0:1]
	v_add_f64 v[2:3], v[2:3], v[12:13]
	v_add_f64 v[12:13], v[26:27], -v[12:13]
	v_mul_f64 v[26:27], v[0:1], s[48:49]
	v_mul_f64 v[50:51], v[0:1], s[28:29]
	;; [unrolled: 1-line block ×12, first 2 shown]
	v_fma_f64 v[44:45], v[40:41], s[10:11], -v[26:27]
	v_fma_f64 v[26:27], v[40:41], s[10:11], v[26:27]
	v_fma_f64 v[52:53], v[40:41], s[6:7], -v[50:51]
	v_fma_f64 v[50:51], v[40:41], s[6:7], v[50:51]
	v_fma_f64 v[94:95], v[40:41], s[0:1], -v[92:93]
	v_fma_f64 v[92:93], v[40:41], s[0:1], v[92:93]
	v_fma_f64 v[102:103], v[40:41], s[12:13], -v[100:101]
	v_fma_f64 v[100:101], v[40:41], s[12:13], v[100:101]
	v_fma_f64 v[110:111], v[40:41], s[16:17], -v[108:109]
	v_fma_f64 v[108:109], v[40:41], s[16:17], v[108:109]
	v_fma_f64 v[116:117], v[40:41], s[30:31], -v[0:1]
	v_fma_f64 v[0:1], v[40:41], s[30:31], v[0:1]
	v_fma_f64 v[48:49], v[42:43], s[10:11], v[46:47]
	v_fma_f64 v[46:47], v[42:43], s[10:11], -v[46:47]
	v_fma_f64 v[88:89], v[42:43], s[6:7], v[54:55]
	v_fma_f64 v[54:55], v[42:43], s[6:7], -v[54:55]
	;; [unrolled: 2-line block ×5, first 2 shown]
	v_add_f64 v[44:45], v[6:7], v[44:45]
	v_add_f64 v[26:27], v[6:7], v[26:27]
	v_add_f64 v[52:53], v[6:7], v[52:53]
	v_add_f64 v[50:51], v[6:7], v[50:51]
	v_add_f64 v[94:95], v[6:7], v[94:95]
	v_add_f64 v[92:93], v[6:7], v[92:93]
	v_add_f64 v[102:103], v[6:7], v[102:103]
	v_add_f64 v[100:101], v[6:7], v[100:101]
	v_add_f64 v[110:111], v[6:7], v[110:111]
	v_add_f64 v[108:109], v[6:7], v[108:109]
	v_add_f64 v[116:117], v[6:7], v[116:117]
	v_fma_f64 v[118:119], v[42:43], s[30:31], v[12:13]
	v_add_f64 v[0:1], v[6:7], v[0:1]
	v_fma_f64 v[6:7], v[42:43], s[30:31], -v[12:13]
	v_add_f64 v[12:13], v[65:66], v[10:11]
	v_add_f64 v[10:11], v[65:66], -v[10:11]
	v_add_f64 v[48:49], v[8:9], v[48:49]
	v_add_f64 v[46:47], v[8:9], v[46:47]
	v_add_f64 v[88:89], v[8:9], v[88:89]
	v_add_f64 v[54:55], v[8:9], v[54:55]
	v_add_f64 v[98:99], v[8:9], v[98:99]
	v_add_f64 v[96:97], v[8:9], v[96:97]
	v_add_f64 v[106:107], v[8:9], v[106:107]
	v_add_f64 v[104:105], v[8:9], v[104:105]
	v_add_f64 v[114:115], v[8:9], v[114:115]
	v_add_f64 v[112:113], v[8:9], v[112:113]
	v_add_f64 v[118:119], v[8:9], v[118:119]
	v_add_f64 v[6:7], v[8:9], v[6:7]
	v_add_f64 v[8:9], v[90:91], v[16:17]
	v_mul_f64 v[40:41], v[10:11], s[28:29]
	v_add_f64 v[16:17], v[90:91], -v[16:17]
	v_fma_f64 v[42:43], v[8:9], s[6:7], -v[40:41]
	v_fma_f64 v[40:41], v[8:9], s[6:7], v[40:41]
	v_add_f64 v[42:43], v[42:43], v[44:45]
	v_mul_f64 v[44:45], v[16:17], s[28:29]
	v_add_f64 v[26:27], v[40:41], v[26:27]
	v_fma_f64 v[65:66], v[12:13], s[6:7], v[44:45]
	v_fma_f64 v[40:41], v[12:13], s[6:7], -v[44:45]
	v_mul_f64 v[44:45], v[10:11], s[14:15]
	v_add_f64 v[48:49], v[65:66], v[48:49]
	v_add_f64 v[40:41], v[40:41], v[46:47]
	v_fma_f64 v[46:47], v[8:9], s[12:13], -v[44:45]
	v_fma_f64 v[44:45], v[8:9], s[12:13], v[44:45]
	v_add_f64 v[46:47], v[46:47], v[52:53]
	v_mul_f64 v[52:53], v[16:17], s[14:15]
	v_add_f64 v[44:45], v[44:45], v[50:51]
	v_fma_f64 v[65:66], v[12:13], s[12:13], v[52:53]
	v_fma_f64 v[50:51], v[12:13], s[12:13], -v[52:53]
	v_mul_f64 v[52:53], v[10:11], s[34:35]
	v_add_f64 v[65:66], v[65:66], v[88:89]
	v_add_f64 v[50:51], v[50:51], v[54:55]
	v_fma_f64 v[54:55], v[8:9], s[30:31], -v[52:53]
	v_fma_f64 v[52:53], v[8:9], s[30:31], v[52:53]
	v_mul_f64 v[88:89], v[16:17], s[34:35]
	v_add_f64 v[54:55], v[54:55], v[94:95]
	v_add_f64 v[52:53], v[52:53], v[92:93]
	v_mul_f64 v[92:93], v[10:11], s[42:43]
	v_fma_f64 v[90:91], v[12:13], s[30:31], v[88:89]
	v_fma_f64 v[88:89], v[12:13], s[30:31], -v[88:89]
	v_fma_f64 v[94:95], v[8:9], s[16:17], -v[92:93]
	v_fma_f64 v[92:93], v[8:9], s[16:17], v[92:93]
	v_add_f64 v[88:89], v[88:89], v[96:97]
	v_mul_f64 v[96:97], v[16:17], s[42:43]
	v_add_f64 v[90:91], v[90:91], v[98:99]
	v_add_f64 v[94:95], v[94:95], v[102:103]
	;; [unrolled: 1-line block ×3, first 2 shown]
	v_mul_f64 v[100:101], v[10:11], s[36:37]
	v_fma_f64 v[98:99], v[12:13], s[16:17], v[96:97]
	v_fma_f64 v[96:97], v[12:13], s[16:17], -v[96:97]
	v_mul_f64 v[10:11], v[10:11], s[38:39]
	v_fma_f64 v[102:103], v[8:9], s[0:1], -v[100:101]
	v_fma_f64 v[100:101], v[8:9], s[0:1], v[100:101]
	v_add_f64 v[96:97], v[96:97], v[104:105]
	v_mul_f64 v[104:105], v[16:17], s[36:37]
	v_mul_f64 v[16:17], v[16:17], s[38:39]
	v_add_f64 v[98:99], v[98:99], v[106:107]
	v_add_f64 v[102:103], v[102:103], v[110:111]
	v_add_f64 v[100:101], v[100:101], v[108:109]
	v_fma_f64 v[108:109], v[8:9], s[10:11], -v[10:11]
	v_fma_f64 v[8:9], v[8:9], s[10:11], v[10:11]
	v_add_f64 v[10:11], v[61:62], v[14:15]
	v_add_f64 v[14:15], v[61:62], -v[14:15]
	v_fma_f64 v[110:111], v[12:13], s[10:11], v[16:17]
	v_fma_f64 v[106:107], v[12:13], s[0:1], v[104:105]
	v_fma_f64 v[104:105], v[12:13], s[0:1], -v[104:105]
	v_add_f64 v[108:109], v[108:109], v[116:117]
	v_add_f64 v[0:1], v[8:9], v[0:1]
	v_fma_f64 v[8:9], v[12:13], s[10:11], -v[16:17]
	v_mul_f64 v[16:17], v[14:15], s[40:41]
	v_add_f64 v[12:13], v[67:68], -v[20:21]
	v_add_f64 v[110:111], v[110:111], v[118:119]
	v_add_f64 v[104:105], v[104:105], v[112:113]
	;; [unrolled: 1-line block ×5, first 2 shown]
	v_fma_f64 v[20:21], v[8:9], s[0:1], -v[16:17]
	v_fma_f64 v[16:17], v[8:9], s[0:1], v[16:17]
	v_add_f64 v[20:21], v[20:21], v[42:43]
	v_mul_f64 v[42:43], v[12:13], s[40:41]
	v_add_f64 v[16:17], v[16:17], v[26:27]
	v_fma_f64 v[26:27], v[10:11], s[0:1], -v[42:43]
	v_fma_f64 v[61:62], v[10:11], s[0:1], v[42:43]
	v_add_f64 v[26:27], v[26:27], v[40:41]
	v_mul_f64 v[40:41], v[14:15], s[34:35]
	v_add_f64 v[48:49], v[61:62], v[48:49]
	;; [unrolled: 5-line block ×3, first 2 shown]
	v_fma_f64 v[61:62], v[10:11], s[30:31], v[46:47]
	v_fma_f64 v[44:45], v[10:11], s[30:31], -v[46:47]
	v_mul_f64 v[46:47], v[14:15], s[50:51]
	v_add_f64 v[61:62], v[61:62], v[65:66]
	v_add_f64 v[44:45], v[44:45], v[50:51]
	v_fma_f64 v[50:51], v[8:9], s[12:13], -v[46:47]
	v_fma_f64 v[46:47], v[8:9], s[12:13], v[46:47]
	v_add_f64 v[50:51], v[50:51], v[54:55]
	v_mul_f64 v[54:55], v[12:13], s[50:51]
	v_add_f64 v[46:47], v[46:47], v[52:53]
	v_fma_f64 v[65:66], v[10:11], s[12:13], v[54:55]
	v_fma_f64 v[52:53], v[10:11], s[12:13], -v[54:55]
	v_mul_f64 v[54:55], v[14:15], s[38:39]
	v_add_f64 v[65:66], v[65:66], v[90:91]
	v_add_f64 v[52:53], v[52:53], v[88:89]
	v_fma_f64 v[67:68], v[8:9], s[10:11], -v[54:55]
	v_fma_f64 v[54:55], v[8:9], s[10:11], v[54:55]
	v_mul_f64 v[88:89], v[12:13], s[38:39]
	v_add_f64 v[67:68], v[67:68], v[94:95]
	v_add_f64 v[54:55], v[54:55], v[92:93]
	v_mul_f64 v[92:93], v[14:15], s[28:29]
	v_fma_f64 v[90:91], v[10:11], s[10:11], v[88:89]
	v_fma_f64 v[88:89], v[10:11], s[10:11], -v[88:89]
	v_mul_f64 v[14:15], v[14:15], s[26:27]
	v_fma_f64 v[94:95], v[8:9], s[6:7], -v[92:93]
	v_fma_f64 v[92:93], v[8:9], s[6:7], v[92:93]
	v_add_f64 v[88:89], v[88:89], v[96:97]
	v_mul_f64 v[96:97], v[12:13], s[28:29]
	v_mul_f64 v[12:13], v[12:13], s[26:27]
	v_add_f64 v[90:91], v[90:91], v[98:99]
	v_add_f64 v[94:95], v[94:95], v[102:103]
	;; [unrolled: 1-line block ×3, first 2 shown]
	v_fma_f64 v[100:101], v[8:9], s[16:17], -v[14:15]
	v_fma_f64 v[8:9], v[8:9], s[16:17], v[14:15]
	v_add_f64 v[14:15], v[57:58], -v[18:19]
	v_fma_f64 v[98:99], v[10:11], s[6:7], v[96:97]
	v_fma_f64 v[96:97], v[10:11], s[6:7], -v[96:97]
	v_fma_f64 v[102:103], v[10:11], s[16:17], v[12:13]
	v_add_f64 v[100:101], v[100:101], v[108:109]
	v_add_f64 v[0:1], v[8:9], v[0:1]
	v_fma_f64 v[8:9], v[10:11], s[16:17], -v[12:13]
	v_add_f64 v[10:11], v[57:58], v[18:19]
	v_mul_f64 v[18:19], v[14:15], s[14:15]
	v_add_f64 v[12:13], v[63:64], -v[38:39]
	v_add_f64 v[96:97], v[96:97], v[104:105]
	v_add_f64 v[102:103], v[102:103], v[110:111]
	;; [unrolled: 1-line block ×5, first 2 shown]
	v_mul_f64 v[63:64], v[12:13], s[40:41]
	v_fma_f64 v[38:39], v[8:9], s[12:13], -v[18:19]
	v_fma_f64 v[18:19], v[8:9], s[12:13], v[18:19]
	v_add_f64 v[20:21], v[38:39], v[20:21]
	v_mul_f64 v[38:39], v[12:13], s[14:15]
	v_add_f64 v[16:17], v[18:19], v[16:17]
	v_fma_f64 v[18:19], v[10:11], s[12:13], -v[38:39]
	v_fma_f64 v[56:57], v[10:11], s[12:13], v[38:39]
	v_add_f64 v[18:19], v[18:19], v[26:27]
	v_mul_f64 v[26:27], v[14:15], s[42:43]
	v_add_f64 v[48:49], v[56:57], v[48:49]
	;; [unrolled: 5-line block ×3, first 2 shown]
	v_fma_f64 v[56:57], v[10:11], s[16:17], v[42:43]
	v_fma_f64 v[40:41], v[10:11], s[16:17], -v[42:43]
	v_mul_f64 v[42:43], v[14:15], s[38:39]
	v_add_f64 v[56:57], v[56:57], v[61:62]
	v_add_f64 v[40:41], v[40:41], v[44:45]
	v_fma_f64 v[44:45], v[8:9], s[10:11], -v[42:43]
	v_fma_f64 v[42:43], v[8:9], s[10:11], v[42:43]
	v_add_f64 v[44:45], v[44:45], v[50:51]
	v_mul_f64 v[50:51], v[12:13], s[38:39]
	v_add_f64 v[42:43], v[42:43], v[46:47]
	v_fma_f64 v[61:62], v[10:11], s[10:11], v[50:51]
	v_fma_f64 v[46:47], v[10:11], s[10:11], -v[50:51]
	v_mul_f64 v[50:51], v[14:15], s[40:41]
	v_add_f64 v[61:62], v[61:62], v[65:66]
	v_add_f64 v[46:47], v[46:47], v[52:53]
	v_fma_f64 v[52:53], v[8:9], s[0:1], -v[50:51]
	v_fma_f64 v[50:51], v[8:9], s[0:1], v[50:51]
	v_fma_f64 v[65:66], v[10:11], s[0:1], v[63:64]
	v_add_f64 v[52:53], v[52:53], v[67:68]
	v_add_f64 v[50:51], v[50:51], v[54:55]
	v_fma_f64 v[54:55], v[10:11], s[0:1], -v[63:64]
	v_mul_f64 v[63:64], v[14:15], s[46:47]
	v_mul_f64 v[14:15], v[14:15], s[44:45]
	v_add_f64 v[65:66], v[65:66], v[90:91]
	v_add_f64 v[54:55], v[54:55], v[88:89]
	v_fma_f64 v[67:68], v[8:9], s[30:31], -v[63:64]
	v_fma_f64 v[63:64], v[8:9], s[30:31], v[63:64]
	v_mul_f64 v[88:89], v[12:13], s[46:47]
	v_mul_f64 v[12:13], v[12:13], s[44:45]
	v_add_f64 v[67:68], v[67:68], v[94:95]
	v_add_f64 v[63:64], v[63:64], v[92:93]
	v_fma_f64 v[92:93], v[8:9], s[6:7], -v[14:15]
	v_fma_f64 v[8:9], v[8:9], s[6:7], v[14:15]
	v_add_f64 v[14:15], v[22:23], -v[36:37]
	v_fma_f64 v[90:91], v[10:11], s[30:31], v[88:89]
	v_fma_f64 v[88:89], v[10:11], s[30:31], -v[88:89]
	v_fma_f64 v[94:95], v[10:11], s[6:7], v[12:13]
	v_add_f64 v[92:93], v[92:93], v[100:101]
	v_add_f64 v[0:1], v[8:9], v[0:1]
	v_fma_f64 v[8:9], v[10:11], s[6:7], -v[12:13]
	v_add_f64 v[10:11], v[22:23], v[36:37]
	v_mul_f64 v[22:23], v[14:15], s[26:27]
	v_add_f64 v[12:13], v[59:60], -v[34:35]
	v_add_f64 v[88:89], v[88:89], v[96:97]
	v_add_f64 v[94:95], v[94:95], v[102:103]
	;; [unrolled: 1-line block ×3, first 2 shown]
	v_add_f64 v[28:29], v[28:29], -v[32:33]
	v_add_f64 v[100:101], v[24:25], v[30:31]
	v_add_f64 v[30:31], v[24:25], -v[30:31]
	v_add_f64 v[90:91], v[90:91], v[98:99]
	v_add_f64 v[6:7], v[8:9], v[6:7]
	;; [unrolled: 1-line block ×3, first 2 shown]
	v_mul_f64 v[24:25], v[30:31], s[44:45]
	v_mul_f64 v[32:33], v[30:31], s[14:15]
	v_fma_f64 v[34:35], v[8:9], s[16:17], -v[22:23]
	v_fma_f64 v[22:23], v[8:9], s[16:17], v[22:23]
	v_add_f64 v[20:21], v[34:35], v[20:21]
	v_mul_f64 v[34:35], v[12:13], s[26:27]
	v_add_f64 v[16:17], v[22:23], v[16:17]
	v_fma_f64 v[22:23], v[10:11], s[16:17], -v[34:35]
	v_fma_f64 v[36:37], v[10:11], s[16:17], v[34:35]
	v_add_f64 v[18:19], v[22:23], v[18:19]
	v_mul_f64 v[22:23], v[14:15], s[36:37]
	v_add_f64 v[36:37], v[36:37], v[48:49]
	;; [unrolled: 5-line block ×3, first 2 shown]
	v_fma_f64 v[48:49], v[10:11], s[0:1], v[38:39]
	v_fma_f64 v[26:27], v[10:11], s[0:1], -v[38:39]
	v_mul_f64 v[38:39], v[14:15], s[28:29]
	v_add_f64 v[56:57], v[48:49], v[56:57]
	v_add_f64 v[26:27], v[26:27], v[40:41]
	v_fma_f64 v[40:41], v[8:9], s[6:7], -v[38:39]
	v_fma_f64 v[38:39], v[8:9], s[6:7], v[38:39]
	v_add_f64 v[40:41], v[40:41], v[44:45]
	v_mul_f64 v[44:45], v[12:13], s[28:29]
	v_add_f64 v[38:39], v[38:39], v[42:43]
	v_fma_f64 v[42:43], v[10:11], s[6:7], -v[44:45]
	v_fma_f64 v[48:49], v[10:11], s[6:7], v[44:45]
	v_add_f64 v[44:45], v[42:43], v[46:47]
	v_mul_f64 v[42:43], v[14:15], s[46:47]
	;; [unrolled: 5-line block ×4, first 2 shown]
	v_mul_f64 v[14:15], v[14:15], s[14:15]
	v_add_f64 v[65:66], v[48:49], v[65:66]
	v_fma_f64 v[46:47], v[8:9], s[10:11], -v[42:43]
	v_fma_f64 v[42:43], v[8:9], s[10:11], v[42:43]
	v_add_f64 v[67:68], v[46:47], v[67:68]
	v_mul_f64 v[46:47], v[12:13], s[38:39]
	v_add_f64 v[62:63], v[42:43], v[63:64]
	v_mul_f64 v[12:13], v[12:13], s[14:15]
	v_fma_f64 v[42:43], v[10:11], s[10:11], -v[46:47]
	v_fma_f64 v[48:49], v[10:11], s[10:11], v[46:47]
	v_add_f64 v[88:89], v[42:43], v[88:89]
	v_fma_f64 v[42:43], v[8:9], s[12:13], -v[14:15]
	v_fma_f64 v[8:9], v[8:9], s[12:13], v[14:15]
	v_mul_f64 v[14:15], v[28:29], s[38:39]
	v_add_f64 v[90:91], v[48:49], v[90:91]
	v_add_f64 v[92:93], v[42:43], v[92:93]
	v_fma_f64 v[42:43], v[10:11], s[12:13], v[12:13]
	v_add_f64 v[0:1], v[8:9], v[0:1]
	v_fma_f64 v[8:9], v[10:11], s[12:13], -v[12:13]
	v_mul_f64 v[10:11], v[28:29], s[34:35]
	v_mul_f64 v[12:13], v[30:31], s[34:35]
	v_add_f64 v[94:95], v[42:43], v[94:95]
	v_add_f64 v[98:99], v[8:9], v[6:7]
	v_fma_f64 v[6:7], v[100:101], s[30:31], -v[10:11]
	v_fma_f64 v[10:11], v[100:101], s[30:31], v[10:11]
	v_fma_f64 v[8:9], v[102:103], s[30:31], v[12:13]
	v_add_f64 v[6:7], v[6:7], v[20:21]
	v_add_f64 v[50:51], v[10:11], v[16:17]
	v_fma_f64 v[10:11], v[102:103], s[30:31], -v[12:13]
	v_mul_f64 v[16:17], v[30:31], s[38:39]
	v_mul_f64 v[20:21], v[30:31], s[26:27]
	v_add_f64 v[8:9], v[8:9], v[36:37]
	v_add_f64 v[48:49], v[10:11], v[18:19]
	v_fma_f64 v[10:11], v[100:101], s[10:11], -v[14:15]
	v_fma_f64 v[14:15], v[100:101], s[10:11], v[14:15]
	v_mul_f64 v[18:19], v[28:29], s[26:27]
	v_fma_f64 v[12:13], v[102:103], s[10:11], v[16:17]
	v_add_f64 v[10:11], v[10:11], v[34:35]
	v_add_f64 v[46:47], v[14:15], v[22:23]
	v_fma_f64 v[14:15], v[102:103], s[10:11], -v[16:17]
	v_mul_f64 v[22:23], v[28:29], s[44:45]
	v_fma_f64 v[16:17], v[102:103], s[16:17], v[20:21]
	v_add_f64 v[12:13], v[12:13], v[56:57]
	v_add_f64 v[52:53], v[14:15], v[26:27]
	v_fma_f64 v[14:15], v[100:101], s[16:17], -v[18:19]
	v_fma_f64 v[18:19], v[100:101], s[16:17], v[18:19]
	v_mul_f64 v[26:27], v[28:29], s[14:15]
	v_add_f64 v[16:17], v[16:17], v[58:59]
	v_add_f64 v[14:15], v[14:15], v[40:41]
	;; [unrolled: 1-line block ×3, first 2 shown]
	v_fma_f64 v[18:19], v[102:103], s[16:17], -v[20:21]
	v_fma_f64 v[20:21], v[102:103], s[6:7], v[24:25]
	v_add_f64 v[44:45], v[18:19], v[44:45]
	v_fma_f64 v[18:19], v[100:101], s[6:7], -v[22:23]
	v_fma_f64 v[22:23], v[100:101], s[6:7], v[22:23]
	v_add_f64 v[20:21], v[20:21], v[65:66]
	v_add_f64 v[18:19], v[18:19], v[60:61]
	;; [unrolled: 1-line block ×3, first 2 shown]
	v_fma_f64 v[22:23], v[102:103], s[6:7], -v[24:25]
	v_fma_f64 v[24:25], v[102:103], s[12:13], v[32:33]
	v_add_f64 v[40:41], v[22:23], v[54:55]
	v_fma_f64 v[22:23], v[100:101], s[12:13], -v[26:27]
	v_fma_f64 v[26:27], v[100:101], s[12:13], v[26:27]
	v_mul_f64 v[54:55], v[30:31], s[36:37]
	v_add_f64 v[24:25], v[24:25], v[90:91]
	v_add_f64 v[22:23], v[22:23], v[67:68]
	;; [unrolled: 1-line block ×3, first 2 shown]
	v_fma_f64 v[26:27], v[102:103], s[12:13], -v[32:33]
	v_mul_f64 v[32:33], v[28:29], s[36:37]
	v_mul_lo_u32 v62, v87, v86
	v_fma_f64 v[28:29], v[102:103], s[0:1], v[54:55]
	v_add_f64 v[36:37], v[26:27], v[88:89]
	v_fma_f64 v[30:31], v[100:101], s[0:1], v[32:33]
	v_fma_f64 v[26:27], v[100:101], s[0:1], -v[32:33]
	v_add_f64 v[28:29], v[28:29], v[94:95]
	v_add_f64 v[30:31], v[30:31], v[0:1]
	v_fma_f64 v[0:1], v[102:103], s[0:1], -v[54:55]
	s_add_i32 s0, 0, 0x7ec0
	v_add_f64 v[26:27], v[26:27], v[92:93]
	v_add_f64 v[32:33], v[0:1], v[98:99]
	v_and_b32_e32 v0, 63, v62
	v_lshl_add_u32 v0, v0, 4, 0
	ds_read_b128 v[54:57], v0 offset:32448
	v_lshrrev_b32_e32 v0, 2, v62
	v_and_b32_e32 v0, 0x3f0, v0
	v_add_nc_u32_e32 v0, s0, v0
	ds_read_b128 v[58:61], v0 offset:1024
	s_waitcnt lgkmcnt(0)
	v_mul_f64 v[0:1], v[56:57], v[60:61]
	v_fma_f64 v[0:1], v[54:55], v[58:59], -v[0:1]
	v_mul_f64 v[54:55], v[54:55], v[60:61]
	v_fma_f64 v[58:59], v[56:57], v[58:59], v[54:55]
	v_lshrrev_b32_e32 v54, 8, v62
	v_and_b32_e32 v54, 0x3f0, v54
	v_add_nc_u32_e32 v54, s0, v54
	ds_read_b128 v[54:57], v54 offset:2048
	s_waitcnt lgkmcnt(0)
	v_mul_f64 v[60:61], v[58:59], v[56:57]
	v_fma_f64 v[60:61], v[54:55], v[0:1], -v[60:61]
	v_mul_f64 v[0:1], v[0:1], v[56:57]
	v_fma_f64 v[54:55], v[54:55], v[58:59], v[0:1]
	v_mul_f64 v[0:1], v[4:5], v[54:55]
	v_fma_f64 v[0:1], v[2:3], v[60:61], -v[0:1]
	v_mul_f64 v[2:3], v[2:3], v[54:55]
	v_mul_lo_u32 v54, v86, 13
	v_add_nc_u32_e32 v63, v62, v54
	v_fma_f64 v[2:3], v[4:5], v[60:61], v[2:3]
	v_and_b32_e32 v4, 63, v63
	v_lshl_add_u32 v4, v4, 4, 0
	ds_read_b128 v[55:58], v4 offset:32448
	v_lshrrev_b32_e32 v4, 2, v63
	v_and_b32_e32 v4, 0x3f0, v4
	v_add_nc_u32_e32 v4, s0, v4
	ds_read_b128 v[59:62], v4 offset:1024
	s_waitcnt lgkmcnt(0)
	v_mul_f64 v[4:5], v[57:58], v[61:62]
	v_fma_f64 v[4:5], v[55:56], v[59:60], -v[4:5]
	v_mul_f64 v[55:56], v[55:56], v[61:62]
	v_fma_f64 v[59:60], v[57:58], v[59:60], v[55:56]
	v_lshrrev_b32_e32 v55, 8, v63
	v_add_nc_u32_e32 v63, v63, v54
	v_and_b32_e32 v55, 0x3f0, v55
	v_add_nc_u32_e32 v55, s0, v55
	ds_read_b128 v[55:58], v55 offset:2048
	s_waitcnt lgkmcnt(0)
	v_mul_f64 v[61:62], v[59:60], v[57:58]
	v_fma_f64 v[61:62], v[55:56], v[4:5], -v[61:62]
	v_mul_f64 v[4:5], v[4:5], v[57:58]
	v_fma_f64 v[55:56], v[55:56], v[59:60], v[4:5]
	v_mul_f64 v[4:5], v[8:9], v[55:56]
	v_fma_f64 v[4:5], v[6:7], v[61:62], -v[4:5]
	v_mul_f64 v[6:7], v[6:7], v[55:56]
	v_fma_f64 v[6:7], v[8:9], v[61:62], v[6:7]
	v_and_b32_e32 v8, 63, v63
	v_lshl_add_u32 v8, v8, 4, 0
	ds_read_b128 v[55:58], v8 offset:32448
	v_lshrrev_b32_e32 v8, 2, v63
	v_and_b32_e32 v8, 0x3f0, v8
	v_add_nc_u32_e32 v8, s0, v8
	ds_read_b128 v[59:62], v8 offset:1024
	s_waitcnt lgkmcnt(0)
	v_mul_f64 v[8:9], v[57:58], v[61:62]
	v_fma_f64 v[8:9], v[55:56], v[59:60], -v[8:9]
	v_mul_f64 v[55:56], v[55:56], v[61:62]
	v_fma_f64 v[59:60], v[57:58], v[59:60], v[55:56]
	v_lshrrev_b32_e32 v55, 8, v63
	v_add_nc_u32_e32 v63, v63, v54
	v_and_b32_e32 v55, 0x3f0, v55
	v_add_nc_u32_e32 v55, s0, v55
	ds_read_b128 v[55:58], v55 offset:2048
	s_waitcnt lgkmcnt(0)
	v_mul_f64 v[61:62], v[59:60], v[57:58]
	v_fma_f64 v[61:62], v[55:56], v[8:9], -v[61:62]
	v_mul_f64 v[8:9], v[8:9], v[57:58]
	v_fma_f64 v[55:56], v[55:56], v[59:60], v[8:9]
	v_mul_f64 v[8:9], v[12:13], v[55:56]
	v_fma_f64 v[8:9], v[10:11], v[61:62], -v[8:9]
	v_mul_f64 v[10:11], v[10:11], v[55:56]
	;; [unrolled: 26-line block ×10, first 2 shown]
	v_fma_f64 v[42:43], v[44:45], v[61:62], v[42:43]
	v_and_b32_e32 v44, 63, v63
	v_lshl_add_u32 v44, v44, 4, 0
	ds_read_b128 v[55:58], v44 offset:32448
	v_lshrrev_b32_e32 v44, 2, v63
	v_and_b32_e32 v44, 0x3f0, v44
	v_add_nc_u32_e32 v44, s0, v44
	ds_read_b128 v[59:62], v44 offset:1024
	s_waitcnt lgkmcnt(0)
	v_mul_f64 v[44:45], v[57:58], v[61:62]
	v_fma_f64 v[44:45], v[55:56], v[59:60], -v[44:45]
	v_mul_f64 v[55:56], v[55:56], v[61:62]
	v_fma_f64 v[59:60], v[57:58], v[59:60], v[55:56]
	v_lshrrev_b32_e32 v55, 8, v63
	v_and_b32_e32 v55, 0x3f0, v55
	v_add_nc_u32_e32 v55, s0, v55
	ds_read_b128 v[55:58], v55 offset:2048
	s_waitcnt lgkmcnt(0)
	v_mul_f64 v[61:62], v[59:60], v[57:58]
	v_fma_f64 v[61:62], v[55:56], v[44:45], -v[61:62]
	v_mul_f64 v[44:45], v[44:45], v[57:58]
	v_fma_f64 v[55:56], v[55:56], v[59:60], v[44:45]
	v_mul_f64 v[44:45], v[52:53], v[55:56]
	v_fma_f64 v[44:45], v[46:47], v[61:62], -v[44:45]
	v_mul_f64 v[46:47], v[46:47], v[55:56]
	v_add_nc_u32_e32 v56, v63, v54
	v_fma_f64 v[46:47], v[52:53], v[61:62], v[46:47]
	v_and_b32_e32 v52, 63, v56
	v_lshl_add_u32 v52, v52, 4, 0
	ds_read_b128 v[57:60], v52 offset:32448
	v_lshrrev_b32_e32 v52, 2, v56
	v_lshrrev_b32_e32 v56, 8, v56
	v_and_b32_e32 v52, 0x3f0, v52
	v_and_b32_e32 v56, 0x3f0, v56
	v_add_nc_u32_e32 v52, s0, v52
	v_add_nc_u32_e32 v56, s0, v56
	ds_read_b128 v[61:64], v52 offset:1024
	s_waitcnt lgkmcnt(0)
	v_mul_f64 v[54:55], v[57:58], v[63:64]
	v_mul_f64 v[52:53], v[59:60], v[63:64]
	v_fma_f64 v[54:55], v[59:60], v[61:62], v[54:55]
	v_fma_f64 v[52:53], v[57:58], v[61:62], -v[52:53]
	ds_read_b128 v[56:59], v56 offset:2048
	s_waitcnt lgkmcnt(0)
	s_barrier
	buffer_gl0_inv
	v_mul_f64 v[60:61], v[54:55], v[58:59]
	v_fma_f64 v[60:61], v[56:57], v[52:53], -v[60:61]
	v_mul_f64 v[52:53], v[52:53], v[58:59]
	v_fma_f64 v[54:55], v[56:57], v[54:55], v[52:53]
	v_mul_f64 v[52:53], v[48:49], v[54:55]
	v_fma_f64 v[52:53], v[50:51], v[60:61], -v[52:53]
	v_mul_f64 v[50:51], v[50:51], v[54:55]
	v_fma_f64 v[54:55], v[48:49], v[60:61], v[50:51]
	ds_write_b128 v85, v[0:3]
	ds_write_b128 v85, v[4:7] offset:208
	ds_write_b128 v85, v[8:11] offset:416
	;; [unrolled: 1-line block ×12, first 2 shown]
	s_waitcnt lgkmcnt(0)
	s_barrier
	buffer_gl0_inv
	s_and_saveexec_b32 s0, s9
	s_cbranch_execz .LBB0_19
; %bb.18:
	v_mad_u64_u32 v[4:5], null, s22, v82, 0
	v_mad_u64_u32 v[6:7], null, s20, v81, 0
	s_mul_i32 s1, s3, s8
	s_mul_hi_u32 s3, s2, s8
	v_add3_u32 v30, 0, v84, v83
	s_mul_i32 s0, s2, s8
	v_mov_b32_e32 v0, v5
	s_add_i32 s1, s3, s1
	v_mov_b32_e32 v1, v7
	s_lshl_b64 s[0:1], s[0:1], 4
	v_mad_u64_u32 v[8:9], null, s20, v80, 0
	s_add_u32 s2, s18, s0
	v_mad_u64_u32 v[2:3], null, s23, v82, v[0:1]
	s_addc_u32 s3, s19, s1
	s_lshl_b64 s[0:1], s[4:5], 4
	v_mad_u64_u32 v[12:13], null, s20, v79, 0
	s_add_u32 s0, s2, s0
	s_addc_u32 s1, s3, s1
	v_mad_u64_u32 v[10:11], null, s21, v81, v[1:2]
	v_mov_b32_e32 v5, v2
	ds_read_b128 v[0:3], v30
	v_mad_u64_u32 v[20:21], null, s20, v76, 0
	v_lshlrev_b64 v[4:5], 4, v[4:5]
	v_mov_b32_e32 v7, v10
	v_mad_u64_u32 v[10:11], null, s20, v78, 0
	v_add_co_u32 v31, vcc_lo, s0, v4
	v_add_co_ci_u32_e32 v32, vcc_lo, s1, v5, vcc_lo
	v_lshlrev_b64 v[4:5], 4, v[6:7]
	v_mad_u64_u32 v[6:7], null, s21, v80, v[9:10]
	v_mov_b32_e32 v7, v11
	v_mov_b32_e32 v9, v13
	v_add_co_u32 v13, vcc_lo, v31, v4
	v_mad_u64_u32 v[15:16], null, s21, v78, v[7:8]
	v_add_co_ci_u32_e32 v14, vcc_lo, v32, v5, vcc_lo
	v_mad_u64_u32 v[16:17], null, s21, v79, v[9:10]
	v_mov_b32_e32 v9, v6
	ds_read_b128 v[4:7], v30 offset:208
	s_waitcnt lgkmcnt(1)
	global_store_dwordx4 v[13:14], v[0:3], off
	v_mov_b32_e32 v11, v15
	v_mad_u64_u32 v[14:15], null, s20, v77, 0
	v_lshlrev_b64 v[0:1], 4, v[8:9]
	v_mov_b32_e32 v13, v16
	v_lshlrev_b64 v[18:19], 4, v[10:11]
	v_add_co_u32 v16, vcc_lo, v31, v0
	v_add_co_ci_u32_e32 v17, vcc_lo, v32, v1, vcc_lo
	ds_read_b128 v[0:3], v30 offset:416
	ds_read_b128 v[8:11], v30 offset:624
	v_lshlrev_b64 v[12:13], 4, v[12:13]
	v_mad_u64_u32 v[22:23], null, s21, v77, v[15:16]
	v_add_co_u32 v18, vcc_lo, v31, v18
	v_add_co_ci_u32_e32 v19, vcc_lo, v32, v19, vcc_lo
	v_mad_u64_u32 v[23:24], null, s20, v75, 0
	v_add_co_u32 v12, vcc_lo, v31, v12
	v_add_co_ci_u32_e32 v13, vcc_lo, v32, v13, vcc_lo
	v_mov_b32_e32 v15, v22
	v_mad_u64_u32 v[21:22], null, s21, v76, v[21:22]
	s_waitcnt lgkmcnt(2)
	global_store_dwordx4 v[16:17], v[4:7], off
	s_waitcnt lgkmcnt(1)
	global_store_dwordx4 v[18:19], v[0:3], off
	;; [unrolled: 2-line block ×3, first 2 shown]
	v_mad_u64_u32 v[16:17], null, s20, v74, 0
	v_mov_b32_e32 v2, v24
	v_lshlrev_b64 v[10:11], 4, v[20:21]
	v_lshlrev_b64 v[0:1], 4, v[14:15]
	v_mad_u64_u32 v[8:9], null, s21, v75, v[2:3]
	v_mov_b32_e32 v9, v17
	v_add_co_u32 v18, vcc_lo, v31, v0
	v_add_co_ci_u32_e32 v19, vcc_lo, v32, v1, vcc_lo
	v_mad_u64_u32 v[20:21], null, s21, v74, v[9:10]
	v_mad_u64_u32 v[21:22], null, s20, v73, 0
	ds_read_b128 v[0:3], v30 offset:832
	ds_read_b128 v[4:7], v30 offset:1040
	v_add_co_u32 v25, vcc_lo, v31, v10
	v_mov_b32_e32 v24, v8
	v_mov_b32_e32 v17, v20
	v_add_co_ci_u32_e32 v26, vcc_lo, v32, v11, vcc_lo
	v_mov_b32_e32 v20, v22
	ds_read_b128 v[8:11], v30 offset:1248
	ds_read_b128 v[12:15], v30 offset:1456
	v_lshlrev_b64 v[23:24], 4, v[23:24]
	v_lshlrev_b64 v[16:17], 4, v[16:17]
	v_mad_u64_u32 v[27:28], null, s21, v73, v[20:21]
	v_mad_u64_u32 v[28:29], null, s20, v72, 0
	v_add_co_u32 v23, vcc_lo, v31, v23
	v_add_co_ci_u32_e32 v24, vcc_lo, v32, v24, vcc_lo
	v_mov_b32_e32 v22, v27
	s_waitcnt lgkmcnt(3)
	global_store_dwordx4 v[18:19], v[0:3], off
	v_add_co_u32 v16, vcc_lo, v31, v16
	v_mov_b32_e32 v0, v29
	v_lshlrev_b64 v[1:2], 4, v[21:22]
	v_add_co_ci_u32_e32 v17, vcc_lo, v32, v17, vcc_lo
	s_waitcnt lgkmcnt(2)
	global_store_dwordx4 v[25:26], v[4:7], off
	s_waitcnt lgkmcnt(1)
	global_store_dwordx4 v[23:24], v[8:11], off
	;; [unrolled: 2-line block ×3, first 2 shown]
	v_mad_u64_u32 v[8:9], null, s20, v71, 0
	v_mad_u64_u32 v[3:4], null, s21, v72, v[0:1]
	;; [unrolled: 1-line block ×4, first 2 shown]
	v_mov_b32_e32 v0, v9
	v_add_co_u32 v22, vcc_lo, v31, v1
	v_mov_b32_e32 v29, v3
	v_add_co_ci_u32_e32 v23, vcc_lo, v32, v2, vcc_lo
	v_mad_u64_u32 v[9:10], null, s21, v71, v[0:1]
	v_lshlrev_b64 v[11:12], 4, v[28:29]
	v_mov_b32_e32 v10, v21
	v_mov_b32_e32 v13, v25
	ds_read_b128 v[0:3], v30 offset:1664
	ds_read_b128 v[4:7], v30 offset:1872
	v_mad_u64_u32 v[14:15], null, s21, v70, v[10:11]
	v_lshlrev_b64 v[28:29], 4, v[8:9]
	v_mad_u64_u32 v[25:26], null, s21, v69, v[13:14]
	v_add_co_u32 v26, vcc_lo, v31, v11
	v_add_co_ci_u32_e32 v27, vcc_lo, v32, v12, vcc_lo
	v_mov_b32_e32 v21, v14
	ds_read_b128 v[8:11], v30 offset:2080
	ds_read_b128 v[12:15], v30 offset:2288
	;; [unrolled: 1-line block ×3, first 2 shown]
	v_add_co_u32 v28, vcc_lo, v31, v28
	v_lshlrev_b64 v[24:25], 4, v[24:25]
	v_lshlrev_b64 v[20:21], 4, v[20:21]
	v_add_co_ci_u32_e32 v29, vcc_lo, v32, v29, vcc_lo
	v_add_co_u32 v20, vcc_lo, v31, v20
	v_add_co_ci_u32_e32 v21, vcc_lo, v32, v21, vcc_lo
	v_add_co_u32 v24, vcc_lo, v31, v24
	v_add_co_ci_u32_e32 v25, vcc_lo, v32, v25, vcc_lo
	s_waitcnt lgkmcnt(4)
	global_store_dwordx4 v[22:23], v[0:3], off
	s_waitcnt lgkmcnt(3)
	global_store_dwordx4 v[26:27], v[4:7], off
	s_waitcnt lgkmcnt(2)
	global_store_dwordx4 v[28:29], v[8:11], off
	s_waitcnt lgkmcnt(1)
	global_store_dwordx4 v[20:21], v[12:15], off
	s_waitcnt lgkmcnt(0)
	global_store_dwordx4 v[24:25], v[16:19], off
.LBB0_19:
	s_endpgm
	.section	.rodata,"a",@progbits
	.p2align	6, 0x0
	.amdhsa_kernel fft_rtc_fwd_len169_factors_13_13_wgs_156_tpt_13_dp_op_CI_CI_sbcc_twdbase6_3step
		.amdhsa_group_segment_fixed_size 0
		.amdhsa_private_segment_fixed_size 0
		.amdhsa_kernarg_size 112
		.amdhsa_user_sgpr_count 6
		.amdhsa_user_sgpr_private_segment_buffer 1
		.amdhsa_user_sgpr_dispatch_ptr 0
		.amdhsa_user_sgpr_queue_ptr 0
		.amdhsa_user_sgpr_kernarg_segment_ptr 1
		.amdhsa_user_sgpr_dispatch_id 0
		.amdhsa_user_sgpr_flat_scratch_init 0
		.amdhsa_user_sgpr_private_segment_size 0
		.amdhsa_wavefront_size32 1
		.amdhsa_uses_dynamic_stack 0
		.amdhsa_system_sgpr_private_segment_wavefront_offset 0
		.amdhsa_system_sgpr_workgroup_id_x 1
		.amdhsa_system_sgpr_workgroup_id_y 0
		.amdhsa_system_sgpr_workgroup_id_z 0
		.amdhsa_system_sgpr_workgroup_info 0
		.amdhsa_system_vgpr_workitem_id 0
		.amdhsa_next_free_vgpr 122
		.amdhsa_next_free_sgpr 57
		.amdhsa_reserve_vcc 1
		.amdhsa_reserve_flat_scratch 0
		.amdhsa_float_round_mode_32 0
		.amdhsa_float_round_mode_16_64 0
		.amdhsa_float_denorm_mode_32 3
		.amdhsa_float_denorm_mode_16_64 3
		.amdhsa_dx10_clamp 1
		.amdhsa_ieee_mode 1
		.amdhsa_fp16_overflow 0
		.amdhsa_workgroup_processor_mode 1
		.amdhsa_memory_ordered 1
		.amdhsa_forward_progress 0
		.amdhsa_shared_vgpr_count 0
		.amdhsa_exception_fp_ieee_invalid_op 0
		.amdhsa_exception_fp_denorm_src 0
		.amdhsa_exception_fp_ieee_div_zero 0
		.amdhsa_exception_fp_ieee_overflow 0
		.amdhsa_exception_fp_ieee_underflow 0
		.amdhsa_exception_fp_ieee_inexact 0
		.amdhsa_exception_int_div_zero 0
	.end_amdhsa_kernel
	.text
.Lfunc_end0:
	.size	fft_rtc_fwd_len169_factors_13_13_wgs_156_tpt_13_dp_op_CI_CI_sbcc_twdbase6_3step, .Lfunc_end0-fft_rtc_fwd_len169_factors_13_13_wgs_156_tpt_13_dp_op_CI_CI_sbcc_twdbase6_3step
                                        ; -- End function
	.section	.AMDGPU.csdata,"",@progbits
; Kernel info:
; codeLenInByte = 14268
; NumSgprs: 59
; NumVgprs: 122
; ScratchSize: 0
; MemoryBound: 0
; FloatMode: 240
; IeeeMode: 1
; LDSByteSize: 0 bytes/workgroup (compile time only)
; SGPRBlocks: 7
; VGPRBlocks: 15
; NumSGPRsForWavesPerEU: 59
; NumVGPRsForWavesPerEU: 122
; Occupancy: 8
; WaveLimiterHint : 1
; COMPUTE_PGM_RSRC2:SCRATCH_EN: 0
; COMPUTE_PGM_RSRC2:USER_SGPR: 6
; COMPUTE_PGM_RSRC2:TRAP_HANDLER: 0
; COMPUTE_PGM_RSRC2:TGID_X_EN: 1
; COMPUTE_PGM_RSRC2:TGID_Y_EN: 0
; COMPUTE_PGM_RSRC2:TGID_Z_EN: 0
; COMPUTE_PGM_RSRC2:TIDIG_COMP_CNT: 0
	.text
	.p2alignl 6, 3214868480
	.fill 48, 4, 3214868480
	.type	__hip_cuid_1f2e3bfc69e7852,@object ; @__hip_cuid_1f2e3bfc69e7852
	.section	.bss,"aw",@nobits
	.globl	__hip_cuid_1f2e3bfc69e7852
__hip_cuid_1f2e3bfc69e7852:
	.byte	0                               ; 0x0
	.size	__hip_cuid_1f2e3bfc69e7852, 1

	.ident	"AMD clang version 19.0.0git (https://github.com/RadeonOpenCompute/llvm-project roc-6.4.0 25133 c7fe45cf4b819c5991fe208aaa96edf142730f1d)"
	.section	".note.GNU-stack","",@progbits
	.addrsig
	.addrsig_sym __hip_cuid_1f2e3bfc69e7852
	.amdgpu_metadata
---
amdhsa.kernels:
  - .args:
      - .actual_access:  read_only
        .address_space:  global
        .offset:         0
        .size:           8
        .value_kind:     global_buffer
      - .address_space:  global
        .offset:         8
        .size:           8
        .value_kind:     global_buffer
      - .offset:         16
        .size:           8
        .value_kind:     by_value
      - .actual_access:  read_only
        .address_space:  global
        .offset:         24
        .size:           8
        .value_kind:     global_buffer
      - .actual_access:  read_only
        .address_space:  global
        .offset:         32
        .size:           8
        .value_kind:     global_buffer
      - .actual_access:  read_only
        .address_space:  global
        .offset:         40
        .size:           8
        .value_kind:     global_buffer
      - .offset:         48
        .size:           8
        .value_kind:     by_value
      - .actual_access:  read_only
        .address_space:  global
        .offset:         56
        .size:           8
        .value_kind:     global_buffer
      - .actual_access:  read_only
        .address_space:  global
        .offset:         64
        .size:           8
        .value_kind:     global_buffer
      - .offset:         72
        .size:           4
        .value_kind:     by_value
      - .actual_access:  read_only
        .address_space:  global
        .offset:         80
        .size:           8
        .value_kind:     global_buffer
      - .actual_access:  read_only
        .address_space:  global
        .offset:         88
        .size:           8
        .value_kind:     global_buffer
      - .actual_access:  read_only
        .address_space:  global
        .offset:         96
        .size:           8
        .value_kind:     global_buffer
      - .actual_access:  write_only
        .address_space:  global
        .offset:         104
        .size:           8
        .value_kind:     global_buffer
    .group_segment_fixed_size: 0
    .kernarg_segment_align: 8
    .kernarg_segment_size: 112
    .language:       OpenCL C
    .language_version:
      - 2
      - 0
    .max_flat_workgroup_size: 156
    .name:           fft_rtc_fwd_len169_factors_13_13_wgs_156_tpt_13_dp_op_CI_CI_sbcc_twdbase6_3step
    .private_segment_fixed_size: 0
    .sgpr_count:     59
    .sgpr_spill_count: 0
    .symbol:         fft_rtc_fwd_len169_factors_13_13_wgs_156_tpt_13_dp_op_CI_CI_sbcc_twdbase6_3step.kd
    .uniform_work_group_size: 1
    .uses_dynamic_stack: false
    .vgpr_count:     122
    .vgpr_spill_count: 0
    .wavefront_size: 32
    .workgroup_processor_mode: 1
amdhsa.target:   amdgcn-amd-amdhsa--gfx1030
amdhsa.version:
  - 1
  - 2
...

	.end_amdgpu_metadata
